;; amdgpu-corpus repo=ROCm/composable_kernel kind=compiled arch=gfx90a opt=O3
	.text
	.amdgcn_target "amdgcn-amd-amdhsa--gfx90a"
	.amdhsa_code_object_version 6
	.section	.text._ZN2ckL12flush_icacheEv,"axG",@progbits,_ZN2ckL12flush_icacheEv,comdat
	.globl	_ZN2ckL12flush_icacheEv         ; -- Begin function _ZN2ckL12flush_icacheEv
	.p2align	8
	.type	_ZN2ckL12flush_icacheEv,@function
_ZN2ckL12flush_icacheEv:                ; @_ZN2ckL12flush_icacheEv
; %bb.0:
	;;#ASMSTART
	s_icache_inv 
	s_nop 0 
	s_nop 0 
	;; [unrolled: 1-line block ×16, first 2 shown]
	
	;;#ASMEND
	s_endpgm
	.section	.rodata,"a",@progbits
	.p2align	6, 0x0
	.amdhsa_kernel _ZN2ckL12flush_icacheEv
		.amdhsa_group_segment_fixed_size 0
		.amdhsa_private_segment_fixed_size 0
		.amdhsa_kernarg_size 0
		.amdhsa_user_sgpr_count 4
		.amdhsa_user_sgpr_private_segment_buffer 1
		.amdhsa_user_sgpr_dispatch_ptr 0
		.amdhsa_user_sgpr_queue_ptr 0
		.amdhsa_user_sgpr_kernarg_segment_ptr 0
		.amdhsa_user_sgpr_dispatch_id 0
		.amdhsa_user_sgpr_flat_scratch_init 0
		.amdhsa_user_sgpr_kernarg_preload_length 0
		.amdhsa_user_sgpr_kernarg_preload_offset 0
		.amdhsa_user_sgpr_private_segment_size 0
		.amdhsa_uses_dynamic_stack 0
		.amdhsa_system_sgpr_private_segment_wavefront_offset 0
		.amdhsa_system_sgpr_workgroup_id_x 1
		.amdhsa_system_sgpr_workgroup_id_y 0
		.amdhsa_system_sgpr_workgroup_id_z 0
		.amdhsa_system_sgpr_workgroup_info 0
		.amdhsa_system_vgpr_workitem_id 0
		.amdhsa_next_free_vgpr 1
		.amdhsa_next_free_sgpr 0
		.amdhsa_accum_offset 4
		.amdhsa_reserve_vcc 0
		.amdhsa_reserve_flat_scratch 0
		.amdhsa_float_round_mode_32 0
		.amdhsa_float_round_mode_16_64 0
		.amdhsa_float_denorm_mode_32 3
		.amdhsa_float_denorm_mode_16_64 3
		.amdhsa_dx10_clamp 1
		.amdhsa_ieee_mode 1
		.amdhsa_fp16_overflow 0
		.amdhsa_tg_split 0
		.amdhsa_exception_fp_ieee_invalid_op 0
		.amdhsa_exception_fp_denorm_src 0
		.amdhsa_exception_fp_ieee_div_zero 0
		.amdhsa_exception_fp_ieee_overflow 0
		.amdhsa_exception_fp_ieee_underflow 0
		.amdhsa_exception_fp_ieee_inexact 0
		.amdhsa_exception_int_div_zero 0
	.end_amdhsa_kernel
	.section	.text._ZN2ckL12flush_icacheEv,"axG",@progbits,_ZN2ckL12flush_icacheEv,comdat
.Lfunc_end0:
	.size	_ZN2ckL12flush_icacheEv, .Lfunc_end0-_ZN2ckL12flush_icacheEv
                                        ; -- End function
	.section	.AMDGPU.csdata,"",@progbits
; Kernel info:
; codeLenInByte = 140
; NumSgprs: 4
; NumVgprs: 0
; NumAgprs: 0
; TotalNumVgprs: 0
; ScratchSize: 0
; MemoryBound: 0
; FloatMode: 240
; IeeeMode: 1
; LDSByteSize: 0 bytes/workgroup (compile time only)
; SGPRBlocks: 0
; VGPRBlocks: 0
; NumSGPRsForWavesPerEU: 4
; NumVGPRsForWavesPerEU: 1
; AccumOffset: 4
; Occupancy: 8
; WaveLimiterHint : 0
; COMPUTE_PGM_RSRC2:SCRATCH_EN: 0
; COMPUTE_PGM_RSRC2:USER_SGPR: 4
; COMPUTE_PGM_RSRC2:TRAP_HANDLER: 0
; COMPUTE_PGM_RSRC2:TGID_X_EN: 1
; COMPUTE_PGM_RSRC2:TGID_Y_EN: 0
; COMPUTE_PGM_RSRC2:TGID_Z_EN: 0
; COMPUTE_PGM_RSRC2:TIDIG_COMP_CNT: 0
; COMPUTE_PGM_RSRC3_GFX90A:ACCUM_OFFSET: 0
; COMPUTE_PGM_RSRC3_GFX90A:TG_SPLIT: 0
	.section	.text._ZN2ck27kernel_gemm_xdl_cshuffle_v1INS_43GridwiseGemm_k0mk1_k0nk1_mn_xdl_cshuffle_v1INS_13tensor_layout4gemm8RowMajorES4_S4_DF16_DF16_fDF16_DF16_NS_16tensor_operation12element_wise11PassThroughES7_S7_LNS5_6device18GemmSpecializationE0ELNS_25InMemoryDataOperationEnumE0ELi1ELi256ELi256ELi128ELi32ELi8ELi2ELi16ELi16ELi8ELi4ENS_8SequenceIJLi4ELi64ELi1EEEENSB_IJLi1ELi0ELi2EEEESD_Li2ELi8ELi8ELb0ELi1ENSB_IJLi8ELi32ELi1EEEENSB_IJLi0ELi2ELi1EEEESF_Li1ELi4ELi2ELb0ELi0ELi1ELi2ENSB_IJLi1ELi16ELi1ELi16EEEELi4ELNS_13LoopSchedulerE1ELNS_15PipelineVersionE0EDF16_DF16_EELb1EEEvNT_8ArgumentE,"axG",@progbits,_ZN2ck27kernel_gemm_xdl_cshuffle_v1INS_43GridwiseGemm_k0mk1_k0nk1_mn_xdl_cshuffle_v1INS_13tensor_layout4gemm8RowMajorES4_S4_DF16_DF16_fDF16_DF16_NS_16tensor_operation12element_wise11PassThroughES7_S7_LNS5_6device18GemmSpecializationE0ELNS_25InMemoryDataOperationEnumE0ELi1ELi256ELi256ELi128ELi32ELi8ELi2ELi16ELi16ELi8ELi4ENS_8SequenceIJLi4ELi64ELi1EEEENSB_IJLi1ELi0ELi2EEEESD_Li2ELi8ELi8ELb0ELi1ENSB_IJLi8ELi32ELi1EEEENSB_IJLi0ELi2ELi1EEEESF_Li1ELi4ELi2ELb0ELi0ELi1ELi2ENSB_IJLi1ELi16ELi1ELi16EEEELi4ELNS_13LoopSchedulerE1ELNS_15PipelineVersionE0EDF16_DF16_EELb1EEEvNT_8ArgumentE,comdat
	.protected	_ZN2ck27kernel_gemm_xdl_cshuffle_v1INS_43GridwiseGemm_k0mk1_k0nk1_mn_xdl_cshuffle_v1INS_13tensor_layout4gemm8RowMajorES4_S4_DF16_DF16_fDF16_DF16_NS_16tensor_operation12element_wise11PassThroughES7_S7_LNS5_6device18GemmSpecializationE0ELNS_25InMemoryDataOperationEnumE0ELi1ELi256ELi256ELi128ELi32ELi8ELi2ELi16ELi16ELi8ELi4ENS_8SequenceIJLi4ELi64ELi1EEEENSB_IJLi1ELi0ELi2EEEESD_Li2ELi8ELi8ELb0ELi1ENSB_IJLi8ELi32ELi1EEEENSB_IJLi0ELi2ELi1EEEESF_Li1ELi4ELi2ELb0ELi0ELi1ELi2ENSB_IJLi1ELi16ELi1ELi16EEEELi4ELNS_13LoopSchedulerE1ELNS_15PipelineVersionE0EDF16_DF16_EELb1EEEvNT_8ArgumentE ; -- Begin function _ZN2ck27kernel_gemm_xdl_cshuffle_v1INS_43GridwiseGemm_k0mk1_k0nk1_mn_xdl_cshuffle_v1INS_13tensor_layout4gemm8RowMajorES4_S4_DF16_DF16_fDF16_DF16_NS_16tensor_operation12element_wise11PassThroughES7_S7_LNS5_6device18GemmSpecializationE0ELNS_25InMemoryDataOperationEnumE0ELi1ELi256ELi256ELi128ELi32ELi8ELi2ELi16ELi16ELi8ELi4ENS_8SequenceIJLi4ELi64ELi1EEEENSB_IJLi1ELi0ELi2EEEESD_Li2ELi8ELi8ELb0ELi1ENSB_IJLi8ELi32ELi1EEEENSB_IJLi0ELi2ELi1EEEESF_Li1ELi4ELi2ELb0ELi0ELi1ELi2ENSB_IJLi1ELi16ELi1ELi16EEEELi4ELNS_13LoopSchedulerE1ELNS_15PipelineVersionE0EDF16_DF16_EELb1EEEvNT_8ArgumentE
	.globl	_ZN2ck27kernel_gemm_xdl_cshuffle_v1INS_43GridwiseGemm_k0mk1_k0nk1_mn_xdl_cshuffle_v1INS_13tensor_layout4gemm8RowMajorES4_S4_DF16_DF16_fDF16_DF16_NS_16tensor_operation12element_wise11PassThroughES7_S7_LNS5_6device18GemmSpecializationE0ELNS_25InMemoryDataOperationEnumE0ELi1ELi256ELi256ELi128ELi32ELi8ELi2ELi16ELi16ELi8ELi4ENS_8SequenceIJLi4ELi64ELi1EEEENSB_IJLi1ELi0ELi2EEEESD_Li2ELi8ELi8ELb0ELi1ENSB_IJLi8ELi32ELi1EEEENSB_IJLi0ELi2ELi1EEEESF_Li1ELi4ELi2ELb0ELi0ELi1ELi2ENSB_IJLi1ELi16ELi1ELi16EEEELi4ELNS_13LoopSchedulerE1ELNS_15PipelineVersionE0EDF16_DF16_EELb1EEEvNT_8ArgumentE
	.p2align	8
	.type	_ZN2ck27kernel_gemm_xdl_cshuffle_v1INS_43GridwiseGemm_k0mk1_k0nk1_mn_xdl_cshuffle_v1INS_13tensor_layout4gemm8RowMajorES4_S4_DF16_DF16_fDF16_DF16_NS_16tensor_operation12element_wise11PassThroughES7_S7_LNS5_6device18GemmSpecializationE0ELNS_25InMemoryDataOperationEnumE0ELi1ELi256ELi256ELi128ELi32ELi8ELi2ELi16ELi16ELi8ELi4ENS_8SequenceIJLi4ELi64ELi1EEEENSB_IJLi1ELi0ELi2EEEESD_Li2ELi8ELi8ELb0ELi1ENSB_IJLi8ELi32ELi1EEEENSB_IJLi0ELi2ELi1EEEESF_Li1ELi4ELi2ELb0ELi0ELi1ELi2ENSB_IJLi1ELi16ELi1ELi16EEEELi4ELNS_13LoopSchedulerE1ELNS_15PipelineVersionE0EDF16_DF16_EELb1EEEvNT_8ArgumentE,@function
_ZN2ck27kernel_gemm_xdl_cshuffle_v1INS_43GridwiseGemm_k0mk1_k0nk1_mn_xdl_cshuffle_v1INS_13tensor_layout4gemm8RowMajorES4_S4_DF16_DF16_fDF16_DF16_NS_16tensor_operation12element_wise11PassThroughES7_S7_LNS5_6device18GemmSpecializationE0ELNS_25InMemoryDataOperationEnumE0ELi1ELi256ELi256ELi128ELi32ELi8ELi2ELi16ELi16ELi8ELi4ENS_8SequenceIJLi4ELi64ELi1EEEENSB_IJLi1ELi0ELi2EEEESD_Li2ELi8ELi8ELb0ELi1ENSB_IJLi8ELi32ELi1EEEENSB_IJLi0ELi2ELi1EEEESF_Li1ELi4ELi2ELb0ELi0ELi1ELi2ENSB_IJLi1ELi16ELi1ELi16EEEELi4ELNS_13LoopSchedulerE1ELNS_15PipelineVersionE0EDF16_DF16_EELb1EEEvNT_8ArgumentE: ; @_ZN2ck27kernel_gemm_xdl_cshuffle_v1INS_43GridwiseGemm_k0mk1_k0nk1_mn_xdl_cshuffle_v1INS_13tensor_layout4gemm8RowMajorES4_S4_DF16_DF16_fDF16_DF16_NS_16tensor_operation12element_wise11PassThroughES7_S7_LNS5_6device18GemmSpecializationE0ELNS_25InMemoryDataOperationEnumE0ELi1ELi256ELi256ELi128ELi32ELi8ELi2ELi16ELi16ELi8ELi4ENS_8SequenceIJLi4ELi64ELi1EEEENSB_IJLi1ELi0ELi2EEEESD_Li2ELi8ELi8ELb0ELi1ENSB_IJLi8ELi32ELi1EEEENSB_IJLi0ELi2ELi1EEEESF_Li1ELi4ELi2ELb0ELi0ELi1ELi2ENSB_IJLi1ELi16ELi1ELi16EEEELi4ELNS_13LoopSchedulerE1ELNS_15PipelineVersionE0EDF16_DF16_EELb1EEEvNT_8ArgumentE
; %bb.0:
	s_load_dwordx4 s[0:3], s[4:5], 0x10
	s_load_dwordx2 s[20:21], s[4:5], 0x20
	s_add_u32 s7, 0, 0
	v_and_b32_e32 v18, 0xfc, v0
	s_load_dwordx4 s[16:19], s[4:5], 0x48
	s_waitcnt lgkmcnt(0)
	s_addc_u32 s8, s2, 0x7fffffff
	s_add_u32 s7, 0, 0
	s_addc_u32 s22, s0, -1
	s_addk_i32 s0, 0xff
	s_ashr_i32 s10, s0, 31
	s_add_i32 s9, s1, 0x7f
	s_lshr_b32 s10, s10, 24
	s_add_i32 s0, s0, s10
	s_ashr_i32 s10, s9, 31
	s_lshr_b32 s10, s10, 25
	s_add_i32 s9, s9, s10
	s_ashr_i32 s0, s0, 8
	s_ashr_i32 s9, s9, 7
	s_mul_i32 s10, s9, s0
	s_abs_i32 s10, s10
	v_cvt_f32_u32_e32 v1, s10
	s_sub_i32 s12, 0, s10
	s_ashr_i32 s11, s6, 31
	s_abs_i32 s6, s6
	v_rcp_iflag_f32_e32 v1, v1
	v_and_b32_e32 v19, 3, v0
	v_lshlrev_b32_e32 v26, 3, v19
	v_mul_u32_u24_e32 v19, 0x808, v19
	v_mul_f32_e32 v1, 0x4f7ffffe, v1
	v_cvt_u32_f32_e32 v1, v1
	v_and_b32_e32 v37, 0x80, v0
	v_bfe_u32 v36, v0, 4, 2
	v_readfirstlane_b32 s13, v1
	s_mul_i32 s12, s12, s13
	s_mul_hi_u32 s12, s13, s12
	s_add_i32 s13, s13, s12
	s_mul_hi_u32 s12, s6, s13
	s_mul_i32 s12, s12, s10
	s_sub_i32 s6, s6, s12
	s_sub_i32 s12, s6, s10
	s_cmp_ge_u32 s6, s10
	s_cselect_b32 s6, s12, s6
	s_sub_i32 s12, s6, s10
	s_cmp_ge_u32 s6, s10
	s_cselect_b32 s6, s12, s6
	s_abs_i32 s10, s9
	v_cvt_f32_u32_e32 v1, s10
	s_sub_i32 s14, 0, s10
	s_xor_b32 s6, s6, s11
	s_sub_i32 s6, s6, s11
	v_rcp_iflag_f32_e32 v1, v1
	s_abs_i32 s13, s6
	s_xor_b32 s11, s6, s9
	s_ashr_i32 s11, s11, 31
	v_mul_f32_e32 v1, 0x4f7ffffe, v1
	v_cvt_u32_f32_e32 v1, v1
	s_mul_i32 s12, s8, s20
	s_mul_i32 s8, s22, s3
	v_readfirstlane_b32 s15, v1
	s_mul_i32 s14, s14, s15
	s_mul_hi_u32 s14, s15, s14
	s_add_i32 s15, s15, s14
	s_mul_hi_u32 s14, s13, s15
	s_mul_i32 s15, s14, s10
	s_sub_i32 s13, s13, s15
	s_add_i32 s15, s14, 1
	s_sub_i32 s23, s13, s10
	s_cmp_ge_u32 s13, s10
	s_cselect_b32 s14, s15, s14
	s_cselect_b32 s13, s23, s13
	s_add_i32 s15, s14, 1
	s_cmp_ge_u32 s13, s10
	s_cselect_b32 s10, s15, s14
	s_xor_b32 s10, s10, s11
	s_sub_i32 s10, s10, s11
	s_lshr_b32 s11, s0, 29
	s_add_i32 s11, s0, s11
	s_and_b32 s11, s11, -8
	s_sub_i32 s0, s0, s11
	s_cmp_ge_i32 s10, s11
	s_cselect_b32 s0, s0, 8
	s_abs_i32 s13, s0
	v_cvt_f32_u32_e32 v1, s13
	s_mul_i32 s11, s10, s9
	s_sub_i32 s6, s6, s11
	s_ashr_i32 s11, s10, 31
	v_rcp_iflag_f32_e32 v1, v1
	s_lshr_b32 s11, s11, 29
	s_add_i32 s11, s10, s11
	s_and_b32 s11, s11, -8
	v_mul_f32_e32 v1, 0x4f7ffffe, v1
	v_cvt_u32_f32_e32 v1, v1
	s_sub_i32 s11, s10, s11
	s_sub_i32 s15, 0, s13
	s_mul_i32 s9, s11, s9
	v_readfirstlane_b32 s23, v1
	s_mul_i32 s15, s15, s23
	s_add_i32 s9, s9, s6
	s_mul_hi_u32 s15, s23, s15
	s_abs_i32 s14, s9
	s_add_i32 s23, s23, s15
	s_mul_hi_u32 s15, s14, s23
	s_mul_i32 s23, s15, s13
	s_xor_b32 s6, s9, s0
	s_sub_i32 s14, s14, s23
	s_ashr_i32 s6, s6, 31
	s_add_i32 s23, s15, 1
	s_sub_i32 s24, s14, s13
	s_cmp_ge_u32 s14, s13
	s_cselect_b32 s15, s23, s15
	s_cselect_b32 s14, s24, s14
	s_add_i32 s23, s15, 1
	s_cmp_ge_u32 s14, s13
	s_cselect_b32 s13, s23, s15
	s_xor_b32 s13, s13, s6
	s_sub_i32 s6, s13, s6
	s_mul_i32 s0, s6, s0
	s_sub_i32 s0, s9, s0
	s_add_i32 s0, s0, s10
	s_sub_i32 s0, s0, s11
	s_lshl_b32 s9, s0, 8
	v_lshrrev_b32_e32 v1, 4, v0
	v_add_u32_e32 v27, s9, v18
	v_and_b32_e32 v31, 14, v1
	v_mul_lo_u32 v30, v27, s3
	v_lshlrev_b32_e32 v1, 2, v0
	v_mul_lo_u32 v3, v31, s20
	s_lshl_b32 s6, s6, 7
	v_add_u32_e32 v2, v30, v26
	v_and_b32_e32 v32, 0x7c, v1
	v_lshlrev_b32_e32 v3, 1, v3
	s_add_i32 s2, s2, s8
	v_add3_u32 v3, v3, v32, s6
	s_lshl_b32 s10, s2, 1
	v_add_u32_e32 v10, s3, v2
	s_add_i32 s2, s1, s12
	s_mov_b32 s11, 0x20000
	v_lshlrev_b32_e32 v11, 1, v10
	s_lshl_b32 s14, s2, 1
	v_add_u32_e32 v4, s20, v3
	s_lshl_b32 s2, s20, 1
	v_add_u32_e32 v10, s3, v10
	s_mov_b32 s8, s16
	s_mov_b32 s9, s17
	v_lshlrev_b32_e32 v33, 1, v2
	s_mov_b32 s12, s18
	s_mov_b32 s13, s19
	;; [unrolled: 1-line block ×3, first 2 shown]
	v_lshlrev_b32_e32 v2, 1, v3
	v_lshlrev_b32_e32 v5, 1, v4
	v_add_lshl_u32 v12, v4, s2, 1
	v_add_lshl_u32 v13, s2, v3, 1
	v_lshlrev_b32_e32 v34, 1, v10
	buffer_load_dwordx2 v[20:21], v2, s[12:15], 0 offen
	buffer_load_dwordx2 v[22:23], v5, s[12:15], 0 offen
	;; [unrolled: 1-line block ×4, first 2 shown]
	s_nop 0
	buffer_load_dwordx4 v[2:5], v33, s[8:11], 0 offen
	buffer_load_dwordx4 v[6:9], v11, s[8:11], 0 offen
	v_add_lshl_u32 v35, v10, s3, 1
	buffer_load_dwordx4 v[10:13], v34, s[8:11], 0 offen
	buffer_load_dwordx4 v[14:17], v35, s[8:11], 0 offen
	v_and_b32_e32 v34, 63, v0
	v_and_b32_e32 v35, 48, v0
	v_lshlrev_b32_e32 v18, 3, v18
	s_mov_b32 s2, 0x5040100
	s_mov_b32 s16, 0x7060302
	v_sub_u32_e32 v34, v34, v35
	v_add_lshl_u32 v130, v19, v18, 1
	v_lshlrev_b32_e32 v18, 2, v32
	s_load_dword s17, s[4:5], 0x34
	v_lshl_or_b32 v131, v31, 9, v18
	s_load_dwordx2 s[4:5], s[4:5], 0x58
	s_lshl_b32 s24, s6, 1
	s_lshl_b32 s19, s20, 6
	s_waitcnt lgkmcnt(0)
	s_ashr_i32 s18, s17, 31
	s_lshr_b32 s18, s18, 30
	s_add_i32 s17, s17, s18
	s_ashr_i32 s17, s17, 2
	s_add_i32 s17, s17, -1
	s_mul_i32 s18, s20, 0x44
	s_mul_i32 s23, s20, 0x46
	v_add_u32_e32 v132, 0x4030, v131
	s_max_i32 s17, s17, 1
	s_add_i32 s18, s18, s24
	s_add_i32 s23, s23, s24
	v_add_u32_e32 v139, 64, v33
	s_waitcnt vmcnt(6)
	v_perm_b32 v18, v22, v20, s2
	v_perm_b32 v19, v22, v20, s16
	;; [unrolled: 1-line block ×4, first 2 shown]
	s_waitcnt vmcnt(4)
	v_perm_b32 v22, v24, v28, s2
	v_perm_b32 v23, v24, v28, s16
	;; [unrolled: 1-line block ×4, first 2 shown]
	s_waitcnt vmcnt(3)
	ds_write_b128 v130, v[2:5]
	s_waitcnt vmcnt(2)
	ds_write_b128 v130, v[6:9] offset:16
	s_waitcnt vmcnt(1)
	ds_write_b128 v130, v[10:13] offset:32
	;; [unrolled: 2-line block ×3, first 2 shown]
	ds_write_b128 v131, v[22:25] offset:16944
	ds_write_b128 v131, v[18:21] offset:16432
	v_lshlrev_b32_e32 v2, 4, v34
	v_mul_i32_i24_e32 v3, -12, v34
	v_and_b32_e32 v6, 64, v0
	v_lshl_add_u32 v4, v37, 1, v2
	v_add3_u32 v6, v2, v3, v6
	v_lshlrev_b32_e32 v2, 7, v0
	v_and_b32_e32 v7, 0x1800, v2
	v_lshrrev_b32_e32 v2, 5, v0
	v_mul_lo_u32 v2, s20, v2
	v_and_b32_e32 v3, 31, v0
	v_add_lshl_u32 v134, v2, v3, 3
	v_add_u32_e32 v2, 3, v27
	v_mad_u64_u32 v[2:3], s[26:27], s3, v2, v[26:27]
	v_lshl_add_u32 v136, v2, 1, 64
	v_add_u32_e32 v2, 2, v27
	v_mad_u64_u32 v[2:3], s[26:27], s3, v2, v[26:27]
	v_lshl_add_u32 v137, v2, 1, 64
	v_add3_u32 v2, v30, s3, v26
	v_mul_u32_u24_e32 v5, 0x1010, v36
	s_mulk_i32 s20, 0x42
	v_lshl_add_u32 v138, v2, 1, 64
	v_mov_b32_e32 v2, 0
	v_add_u32_e32 v133, v6, v7
	s_add_i32 s20, s20, s24
	s_add_i32 s24, s19, s24
	v_add_u32_e32 v135, v4, v5
	v_add_u32_e32 v140, 0x4000, v133
	;; [unrolled: 1-line block ×3, first 2 shown]
	v_mov_b32_e32 v3, v2
	v_mov_b32_e32 v4, v2
	;; [unrolled: 1-line block ×127, first 2 shown]
.LBB1_1:                                ; =>This Inner Loop Header: Depth=1
	v_add_u32_e32 v158, s24, v134
	buffer_load_dwordx4 v[142:145], v139, s[8:11], 0 offen
	buffer_load_dwordx4 v[146:149], v138, s[8:11], 0 offen
	;; [unrolled: 1-line block ×4, first 2 shown]
	s_waitcnt lgkmcnt(0)
	s_barrier
	v_add_u32_e32 v159, s20, v134
	v_add_u32_e32 v160, s23, v134
	;; [unrolled: 1-line block ×3, first 2 shown]
	buffer_load_dwordx2 v[190:191], v158, s[12:15], 0 offen
	buffer_load_dwordx2 v[192:193], v159, s[12:15], 0 offen
	;; [unrolled: 1-line block ×4, first 2 shown]
	ds_read_b128 v[158:161], v135
	ds_read_b128 v[162:165], v135 offset:512
	ds_read_b128 v[166:169], v135 offset:1024
	;; [unrolled: 1-line block ×7, first 2 shown]
	ds_read2_b32 v[198:199], v140 offset0:12 offset1:44
	ds_read2_b32 v[200:201], v140 offset0:140 offset1:172
	;; [unrolled: 1-line block ×8, first 2 shown]
	; sched_barrier mask(0x00000000)
	;;#ASMSTART
	s_barrier
	;;#ASMEND
	; sched_barrier mask(0x00000000)
	s_waitcnt lgkmcnt(7)
	v_mov_b32_e32 v214, v198
	s_waitcnt lgkmcnt(6)
	v_mov_b32_e32 v215, v200
	;; [unrolled: 2-line block ×4, first 2 shown]
	v_mfma_f32_16x16x16f16 v[126:129], v[158:159], v[214:215], v[126:129]
	s_nop 0
	v_mfma_f32_16x16x16f16 v[126:129], v[160:161], v[216:217], v[126:129]
	; sched_barrier mask(0x00000000)
	s_setprio 1
	; sched_barrier mask(0x00000000)
	v_mov_b32_e32 v200, v199
	s_waitcnt lgkmcnt(3)
	v_mov_b32_e32 v198, v206
	s_waitcnt lgkmcnt(2)
	v_mov_b32_e32 v199, v208
	v_mov_b32_e32 v208, v207
	v_mfma_f32_16x16x16f16 v[122:125], v[158:159], v[200:201], v[122:125]
	v_mov_b32_e32 v204, v203
	s_waitcnt lgkmcnt(1)
	v_mov_b32_e32 v202, v210
	s_waitcnt lgkmcnt(0)
	v_mov_b32_e32 v203, v212
	v_mov_b32_e32 v212, v211
	v_mfma_f32_16x16x16f16 v[118:121], v[158:159], v[198:199], v[118:121]
	v_mfma_f32_16x16x16f16 v[114:117], v[158:159], v[208:209], v[114:117]
	;; [unrolled: 1-line block ×59, first 2 shown]
	; sched_barrier mask(0x00000000)
	s_waitcnt lgkmcnt(0)
	s_barrier
	; sched_barrier mask(0x00000000)
	v_mfma_f32_16x16x16f16 v[2:5], v[186:187], v[208:209], v[2:5]
	v_mfma_f32_16x16x16f16 v[2:5], v[188:189], v[212:213], v[2:5]
	; sched_barrier mask(0x00000000)
	s_setprio 0
	; sched_barrier mask(0x00000000)
	s_add_i32 s18, s18, s19
	s_add_i32 s23, s23, s19
	;; [unrolled: 1-line block ×4, first 2 shown]
	s_add_i32 s17, s17, -1
	s_waitcnt vmcnt(7)
	ds_write_b128 v130, v[142:145]
	s_waitcnt vmcnt(6)
	ds_write_b128 v130, v[146:149] offset:16
	s_waitcnt vmcnt(5)
	ds_write_b128 v130, v[150:153] offset:32
	;; [unrolled: 2-line block ×3, first 2 shown]
	s_waitcnt vmcnt(0)
	v_perm_b32 v146, v194, v196, s2
	v_perm_b32 v147, v194, v196, s16
	;; [unrolled: 1-line block ×4, first 2 shown]
	v_add_u32_e32 v136, 64, v136
	v_add_u32_e32 v137, 64, v137
	;; [unrolled: 1-line block ×3, first 2 shown]
	s_cmp_lg_u32 s17, 0
	v_add_u32_e32 v139, 64, v139
	v_perm_b32 v142, v192, v190, s2
	v_perm_b32 v143, v192, v190, s16
	;; [unrolled: 1-line block ×4, first 2 shown]
	ds_write_b128 v132, v[146:149] offset:512
	ds_write_b128 v131, v[142:145] offset:16432
	s_cbranch_scc1 .LBB1_1
; %bb.2:
	s_waitcnt lgkmcnt(0)
	s_barrier
	ds_read_b128 v[136:139], v135
	ds_read_b128 v[140:143], v135 offset:512
	ds_read_b128 v[144:147], v135 offset:1024
	;; [unrolled: 1-line block ×7, first 2 shown]
	v_add_u32_e32 v172, 0x4000, v133
	v_add_u32_e32 v176, 0x4400, v133
	ds_read2_b32 v[130:131], v172 offset0:12 offset1:44
	ds_read2_b32 v[134:135], v172 offset0:140 offset1:172
	;; [unrolled: 1-line block ×8, first 2 shown]
	s_mul_i32 s22, s22, s21
	s_mul_hi_u32 s2, s7, s21
	s_add_i32 s2, s2, s22
	; sched_barrier mask(0x00000000)
	;;#ASMSTART
	s_barrier
	;;#ASMEND
	; sched_barrier mask(0x00000000)
	s_waitcnt lgkmcnt(7)
	v_mov_b32_e32 v178, v130
	s_waitcnt lgkmcnt(6)
	v_mov_b32_e32 v179, v134
	;; [unrolled: 2-line block ×4, first 2 shown]
	v_mfma_f32_16x16x16f16 v[126:129], v[136:137], v[178:179], v[126:129]
	s_nop 0
	v_mfma_f32_16x16x16f16 v[126:129], v[138:139], v[180:181], v[126:129]
	; sched_barrier mask(0x00000000)
	s_setprio 1
	; sched_barrier mask(0x00000000)
	v_mov_b32_e32 v134, v131
	s_waitcnt lgkmcnt(3)
	v_mov_b32_e32 v130, v170
	s_waitcnt lgkmcnt(2)
	v_mov_b32_e32 v131, v172
	v_mov_b32_e32 v172, v171
	v_mfma_f32_16x16x16f16 v[122:125], v[136:137], v[134:135], v[122:125]
	v_mov_b32_e32 v168, v133
	s_waitcnt lgkmcnt(1)
	v_mov_b32_e32 v132, v174
	s_waitcnt lgkmcnt(0)
	v_mov_b32_e32 v133, v176
	v_mov_b32_e32 v176, v175
	v_mfma_f32_16x16x16f16 v[118:121], v[136:137], v[130:131], v[118:121]
	v_mfma_f32_16x16x16f16 v[114:117], v[136:137], v[172:173], v[114:117]
	;; [unrolled: 1-line block ×59, first 2 shown]
	; sched_barrier mask(0x00000000)
	s_waitcnt lgkmcnt(0)
	s_barrier
	; sched_barrier mask(0x00000000)
	v_mfma_f32_16x16x16f16 v[2:5], v[164:165], v[172:173], v[2:5]
	v_mfma_f32_16x16x16f16 v[2:5], v[166:167], v[176:177], v[2:5]
	; sched_barrier mask(0x00000000)
	s_setprio 0
	; sched_barrier mask(0x00000000)
	v_lshrrev_b32_e32 v130, 2, v0
	v_lshlrev_b32_e32 v131, 3, v0
	v_lshl_or_b32 v132, v0, 4, v0
	v_lshrrev_b32_e32 v0, 3, v0
	v_and_b32_e32 v130, 16, v130
	v_and_b32_e32 v131, 0x400, v131
	;; [unrolled: 1-line block ×5, first 2 shown]
	v_cvt_f16_f32_e32 v126, v126
	v_cvt_f16_f32_e32 v125, v125
	v_or3_b32 v132, v132, v131, v130
	v_or_b32_e32 v0, s6, v1
	v_lshl_or_b32 v130, s0, 8, v133
	v_cvt_f16_f32_e32 v127, v127
	v_cvt_f16_f32_e32 v124, v124
	v_mad_u64_u32 v[130:131], s[6:7], v130, s21, v[0:1]
	v_cvt_f16_f32_e32 v128, v128
	v_cvt_f16_f32_e32 v123, v123
	v_lshlrev_b32_e32 v1, 1, v1
	v_lshlrev_b32_e32 v0, 1, v132
	v_cvt_f16_f32_e32 v129, v129
	v_cvt_f16_f32_e32 v122, v122
	v_lshl_or_b32 v1, v133, 7, v1
	s_waitcnt lgkmcnt(0)
	s_barrier
	ds_write_b16 v0, v126
	ds_write_b16 v0, v127 offset:128
	ds_write_b16 v0, v128 offset:256
	;; [unrolled: 1-line block ×7, first 2 shown]
	s_waitcnt lgkmcnt(0)
	s_barrier
	ds_read2_b64 v[122:125], v1 offset1:16
	s_add_i32 s0, s1, s2
	v_cvt_f16_f32_e32 v118, v118
	v_cvt_f16_f32_e32 v117, v117
	s_lshl_b32 s2, s0, 1
	s_mov_b32 s3, 0x20000
	s_mov_b32 s0, s4
	;; [unrolled: 1-line block ×3, first 2 shown]
	v_lshlrev_b32_e32 v126, 1, v130
	v_cvt_f16_f32_e32 v119, v119
	v_cvt_f16_f32_e32 v116, v116
	s_waitcnt lgkmcnt(0)
	buffer_store_dwordx2 v[122:123], v126, s[0:3], 0 offen
	v_add_u32_e32 v122, s21, v130
	v_cvt_f16_f32_e32 v120, v120
	v_cvt_f16_f32_e32 v115, v115
	v_lshlrev_b32_e32 v123, 1, v122
	v_cvt_f16_f32_e32 v121, v121
	v_cvt_f16_f32_e32 v114, v114
	buffer_store_dwordx2 v[124:125], v123, s[0:3], 0 offen
	s_waitcnt lgkmcnt(0)
	s_barrier
	ds_write_b16 v0, v118
	ds_write_b16 v0, v119 offset:128
	ds_write_b16 v0, v120 offset:256
	;; [unrolled: 1-line block ×7, first 2 shown]
	s_waitcnt lgkmcnt(0)
	s_barrier
	ds_read2_b64 v[114:117], v1 offset1:16
	v_cvt_f16_f32_e32 v102, v102
	v_cvt_f16_f32_e32 v101, v101
	;; [unrolled: 1-line block ×4, first 2 shown]
	v_add_u32_e32 v118, 64, v122
	v_cvt_f16_f32_e32 v104, v104
	v_cvt_f16_f32_e32 v99, v99
	s_waitcnt lgkmcnt(0)
	buffer_store_dwordx2 v[114:115], v126, s[0:3], 0 offen offset:128
	v_lshlrev_b32_e32 v114, 1, v118
	v_cvt_f16_f32_e32 v105, v105
	v_cvt_f16_f32_e32 v98, v98
	buffer_store_dwordx2 v[116:117], v114, s[0:3], 0 offen
	s_waitcnt lgkmcnt(0)
	s_barrier
	ds_write_b16 v0, v102
	ds_write_b16 v0, v103 offset:128
	ds_write_b16 v0, v104 offset:256
	;; [unrolled: 1-line block ×7, first 2 shown]
	s_waitcnt lgkmcnt(0)
	s_barrier
	ds_read2_b64 v[98:101], v1 offset1:16
	s_mul_i32 s4, s21, 31
	v_add_u32_e32 v102, s4, v118
	v_lshlrev_b32_e32 v103, 1, v102
	v_add_u32_e32 v102, s21, v102
	s_waitcnt lgkmcnt(0)
	buffer_store_dwordx2 v[98:99], v103, s[0:3], 0 offen
	v_lshlrev_b32_e32 v98, 1, v102
	buffer_store_dwordx2 v[100:101], v98, s[0:3], 0 offen
	v_cvt_f16_f32_e32 v98, v110
	v_cvt_f16_f32_e32 v99, v111
	;; [unrolled: 1-line block ×4, first 2 shown]
	s_waitcnt lgkmcnt(0)
	s_barrier
	ds_write_b16 v0, v98
	ds_write_b16 v0, v99 offset:128
	ds_write_b16 v0, v100 offset:256
	;; [unrolled: 1-line block ×3, first 2 shown]
	v_cvt_f16_f32_e32 v98, v109
	v_cvt_f16_f32_e32 v99, v108
	;; [unrolled: 1-line block ×4, first 2 shown]
	ds_write_b16 v0, v98 offset:448
	ds_write_b16 v0, v99 offset:320
	;; [unrolled: 1-line block ×4, first 2 shown]
	s_waitcnt lgkmcnt(0)
	s_barrier
	ds_read2_b64 v[98:101], v1 offset1:16
	v_cvt_f16_f32_e32 v94, v94
	v_cvt_f16_f32_e32 v93, v93
	;; [unrolled: 1-line block ×4, first 2 shown]
	v_subrev_u32_e32 v102, 64, v102
	v_add_u32_e32 v103, 0xffffff80, v103
	v_cvt_f16_f32_e32 v96, v96
	v_cvt_f16_f32_e32 v91, v91
	s_waitcnt lgkmcnt(0)
	buffer_store_dwordx2 v[98:99], v103, s[0:3], 0 offen
	v_lshlrev_b32_e32 v98, 1, v102
	v_cvt_f16_f32_e32 v97, v97
	v_cvt_f16_f32_e32 v90, v90
	buffer_store_dwordx2 v[100:101], v98, s[0:3], 0 offen
	s_waitcnt lgkmcnt(0)
	s_barrier
	ds_write_b16 v0, v94
	ds_write_b16 v0, v95 offset:128
	ds_write_b16 v0, v96 offset:256
	;; [unrolled: 1-line block ×7, first 2 shown]
	s_waitcnt lgkmcnt(0)
	s_barrier
	ds_read2_b64 v[90:93], v1 offset1:16
	v_add_u32_e32 v94, s4, v102
	v_cvt_f16_f32_e32 v86, v86
	v_cvt_f16_f32_e32 v85, v85
	v_lshlrev_b32_e32 v95, 1, v94
	v_cvt_f16_f32_e32 v87, v87
	v_cvt_f16_f32_e32 v84, v84
	s_waitcnt lgkmcnt(0)
	buffer_store_dwordx2 v[90:91], v95, s[0:3], 0 offen
	v_add_u32_e32 v90, s21, v94
	v_cvt_f16_f32_e32 v88, v88
	v_cvt_f16_f32_e32 v83, v83
	v_lshlrev_b32_e32 v91, 1, v90
	v_cvt_f16_f32_e32 v89, v89
	v_cvt_f16_f32_e32 v82, v82
	buffer_store_dwordx2 v[92:93], v91, s[0:3], 0 offen
	s_waitcnt lgkmcnt(0)
	s_barrier
	ds_write_b16 v0, v86
	ds_write_b16 v0, v87 offset:128
	ds_write_b16 v0, v88 offset:256
	;; [unrolled: 1-line block ×7, first 2 shown]
	s_waitcnt lgkmcnt(0)
	s_barrier
	ds_read2_b64 v[82:85], v1 offset1:16
	v_cvt_f16_f32_e32 v70, v70
	v_cvt_f16_f32_e32 v69, v69
	;; [unrolled: 1-line block ×4, first 2 shown]
	v_add_u32_e32 v86, 64, v90
	v_cvt_f16_f32_e32 v72, v72
	v_cvt_f16_f32_e32 v67, v67
	s_waitcnt lgkmcnt(0)
	buffer_store_dwordx2 v[82:83], v95, s[0:3], 0 offen offset:128
	v_lshlrev_b32_e32 v82, 1, v86
	v_cvt_f16_f32_e32 v73, v73
	v_cvt_f16_f32_e32 v66, v66
	buffer_store_dwordx2 v[84:85], v82, s[0:3], 0 offen
	s_waitcnt lgkmcnt(0)
	s_barrier
	ds_write_b16 v0, v70
	ds_write_b16 v0, v71 offset:128
	ds_write_b16 v0, v72 offset:256
	;; [unrolled: 1-line block ×7, first 2 shown]
	s_waitcnt lgkmcnt(0)
	s_barrier
	ds_read2_b64 v[66:69], v1 offset1:16
	v_add_u32_e32 v70, s4, v86
	v_lshlrev_b32_e32 v71, 1, v70
	v_add_u32_e32 v70, s21, v70
	v_cvt_f16_f32_e32 v62, v62
	s_waitcnt lgkmcnt(0)
	buffer_store_dwordx2 v[66:67], v71, s[0:3], 0 offen
	v_lshlrev_b32_e32 v66, 1, v70
	buffer_store_dwordx2 v[68:69], v66, s[0:3], 0 offen
	v_cvt_f16_f32_e32 v66, v78
	v_cvt_f16_f32_e32 v67, v79
	;; [unrolled: 1-line block ×4, first 2 shown]
	s_waitcnt lgkmcnt(0)
	s_barrier
	ds_write_b16 v0, v66
	ds_write_b16 v0, v67 offset:128
	ds_write_b16 v0, v68 offset:256
	;; [unrolled: 1-line block ×3, first 2 shown]
	v_cvt_f16_f32_e32 v66, v77
	v_cvt_f16_f32_e32 v67, v76
	v_cvt_f16_f32_e32 v68, v75
	v_cvt_f16_f32_e32 v69, v74
	ds_write_b16 v0, v66 offset:448
	ds_write_b16 v0, v67 offset:320
	;; [unrolled: 1-line block ×4, first 2 shown]
	s_waitcnt lgkmcnt(0)
	s_barrier
	ds_read2_b64 v[66:69], v1 offset1:16
	v_cvt_f16_f32_e32 v61, v61
	v_cvt_f16_f32_e32 v63, v63
	;; [unrolled: 1-line block ×3, first 2 shown]
	v_subrev_u32_e32 v70, 64, v70
	v_add_u32_e32 v71, 0xffffff80, v71
	v_cvt_f16_f32_e32 v64, v64
	v_cvt_f16_f32_e32 v59, v59
	s_waitcnt lgkmcnt(0)
	buffer_store_dwordx2 v[66:67], v71, s[0:3], 0 offen
	v_lshlrev_b32_e32 v66, 1, v70
	v_cvt_f16_f32_e32 v65, v65
	v_cvt_f16_f32_e32 v58, v58
	buffer_store_dwordx2 v[68:69], v66, s[0:3], 0 offen
	s_waitcnt lgkmcnt(0)
	s_barrier
	ds_write_b16 v0, v62
	ds_write_b16 v0, v63 offset:128
	ds_write_b16 v0, v64 offset:256
	;; [unrolled: 1-line block ×7, first 2 shown]
	s_waitcnt lgkmcnt(0)
	s_barrier
	ds_read2_b64 v[58:61], v1 offset1:16
	v_add_u32_e32 v62, s4, v70
	v_cvt_f16_f32_e32 v54, v54
	v_cvt_f16_f32_e32 v53, v53
	v_lshlrev_b32_e32 v63, 1, v62
	v_cvt_f16_f32_e32 v55, v55
	v_cvt_f16_f32_e32 v52, v52
	s_waitcnt lgkmcnt(0)
	buffer_store_dwordx2 v[58:59], v63, s[0:3], 0 offen
	v_add_u32_e32 v58, s21, v62
	v_cvt_f16_f32_e32 v56, v56
	v_cvt_f16_f32_e32 v51, v51
	v_lshlrev_b32_e32 v59, 1, v58
	v_cvt_f16_f32_e32 v57, v57
	v_cvt_f16_f32_e32 v50, v50
	buffer_store_dwordx2 v[60:61], v59, s[0:3], 0 offen
	s_waitcnt lgkmcnt(0)
	s_barrier
	ds_write_b16 v0, v54
	ds_write_b16 v0, v55 offset:128
	ds_write_b16 v0, v56 offset:256
	;; [unrolled: 1-line block ×7, first 2 shown]
	s_waitcnt lgkmcnt(0)
	s_barrier
	ds_read2_b64 v[50:53], v1 offset1:16
	v_cvt_f16_f32_e32 v38, v38
	v_cvt_f16_f32_e32 v37, v37
	;; [unrolled: 1-line block ×4, first 2 shown]
	v_add_u32_e32 v54, 64, v58
	v_cvt_f16_f32_e32 v40, v40
	v_cvt_f16_f32_e32 v35, v35
	s_waitcnt lgkmcnt(0)
	buffer_store_dwordx2 v[50:51], v63, s[0:3], 0 offen offset:128
	v_lshlrev_b32_e32 v50, 1, v54
	v_cvt_f16_f32_e32 v41, v41
	v_cvt_f16_f32_e32 v34, v34
	buffer_store_dwordx2 v[52:53], v50, s[0:3], 0 offen
	s_waitcnt lgkmcnt(0)
	s_barrier
	ds_write_b16 v0, v38
	ds_write_b16 v0, v39 offset:128
	ds_write_b16 v0, v40 offset:256
	ds_write_b16 v0, v41 offset:384
	ds_write_b16 v0, v37 offset:448
	ds_write_b16 v0, v36 offset:320
	ds_write_b16 v0, v35 offset:192
	ds_write_b16 v0, v34 offset:64
	s_waitcnt lgkmcnt(0)
	s_barrier
	ds_read2_b64 v[34:37], v1 offset1:16
	v_add_u32_e32 v38, s4, v54
	v_lshlrev_b32_e32 v39, 1, v38
	v_add_u32_e32 v38, s21, v38
	v_cvt_f16_f32_e32 v30, v30
	s_waitcnt lgkmcnt(0)
	buffer_store_dwordx2 v[34:35], v39, s[0:3], 0 offen
	v_lshlrev_b32_e32 v34, 1, v38
	buffer_store_dwordx2 v[36:37], v34, s[0:3], 0 offen
	v_cvt_f16_f32_e32 v34, v46
	v_cvt_f16_f32_e32 v35, v47
	;; [unrolled: 1-line block ×4, first 2 shown]
	s_waitcnt lgkmcnt(0)
	s_barrier
	ds_write_b16 v0, v34
	ds_write_b16 v0, v35 offset:128
	ds_write_b16 v0, v36 offset:256
	ds_write_b16 v0, v37 offset:384
	v_cvt_f16_f32_e32 v34, v45
	v_cvt_f16_f32_e32 v35, v44
	;; [unrolled: 1-line block ×4, first 2 shown]
	ds_write_b16 v0, v34 offset:448
	ds_write_b16 v0, v35 offset:320
	ds_write_b16 v0, v36 offset:192
	ds_write_b16 v0, v37 offset:64
	s_waitcnt lgkmcnt(0)
	s_barrier
	ds_read2_b64 v[34:37], v1 offset1:16
	v_cvt_f16_f32_e32 v29, v29
	v_cvt_f16_f32_e32 v31, v31
	;; [unrolled: 1-line block ×3, first 2 shown]
	v_subrev_u32_e32 v38, 64, v38
	v_add_u32_e32 v39, 0xffffff80, v39
	v_cvt_f16_f32_e32 v32, v32
	v_cvt_f16_f32_e32 v27, v27
	s_waitcnt lgkmcnt(0)
	buffer_store_dwordx2 v[34:35], v39, s[0:3], 0 offen
	v_lshlrev_b32_e32 v34, 1, v38
	v_cvt_f16_f32_e32 v33, v33
	v_cvt_f16_f32_e32 v26, v26
	buffer_store_dwordx2 v[36:37], v34, s[0:3], 0 offen
	s_waitcnt lgkmcnt(0)
	s_barrier
	ds_write_b16 v0, v30
	ds_write_b16 v0, v31 offset:128
	ds_write_b16 v0, v32 offset:256
	;; [unrolled: 1-line block ×7, first 2 shown]
	s_waitcnt lgkmcnt(0)
	s_barrier
	ds_read2_b64 v[26:29], v1 offset1:16
	v_add_u32_e32 v30, s4, v38
	v_cvt_f16_f32_e32 v22, v22
	v_cvt_f16_f32_e32 v21, v21
	v_lshlrev_b32_e32 v31, 1, v30
	v_cvt_f16_f32_e32 v23, v23
	v_cvt_f16_f32_e32 v20, v20
	s_waitcnt lgkmcnt(0)
	buffer_store_dwordx2 v[26:27], v31, s[0:3], 0 offen
	v_add_u32_e32 v26, s21, v30
	v_cvt_f16_f32_e32 v24, v24
	v_cvt_f16_f32_e32 v19, v19
	v_lshlrev_b32_e32 v27, 1, v26
	v_cvt_f16_f32_e32 v25, v25
	v_cvt_f16_f32_e32 v18, v18
	buffer_store_dwordx2 v[28:29], v27, s[0:3], 0 offen
	s_waitcnt lgkmcnt(0)
	s_barrier
	ds_write_b16 v0, v22
	ds_write_b16 v0, v23 offset:128
	ds_write_b16 v0, v24 offset:256
	ds_write_b16 v0, v25 offset:384
	ds_write_b16 v0, v21 offset:448
	ds_write_b16 v0, v20 offset:320
	ds_write_b16 v0, v19 offset:192
	ds_write_b16 v0, v18 offset:64
	s_waitcnt lgkmcnt(0)
	s_barrier
	ds_read2_b64 v[18:21], v1 offset1:16
	v_cvt_f16_f32_e32 v6, v6
	v_cvt_f16_f32_e32 v5, v5
	;; [unrolled: 1-line block ×4, first 2 shown]
	v_add_u32_e32 v22, 64, v26
	v_cvt_f16_f32_e32 v8, v8
	v_cvt_f16_f32_e32 v3, v3
	s_waitcnt lgkmcnt(0)
	buffer_store_dwordx2 v[18:19], v31, s[0:3], 0 offen offset:128
	v_lshlrev_b32_e32 v18, 1, v22
	v_cvt_f16_f32_e32 v9, v9
	v_cvt_f16_f32_e32 v2, v2
	buffer_store_dwordx2 v[20:21], v18, s[0:3], 0 offen
	s_waitcnt lgkmcnt(0)
	s_barrier
	ds_write_b16 v0, v6
	ds_write_b16 v0, v7 offset:128
	ds_write_b16 v0, v8 offset:256
	;; [unrolled: 1-line block ×7, first 2 shown]
	s_waitcnt lgkmcnt(0)
	s_barrier
	ds_read2_b64 v[2:5], v1 offset1:16
	v_add_u32_e32 v6, s4, v22
	v_lshlrev_b32_e32 v7, 1, v6
	v_add_lshl_u32 v6, v6, s21, 1
	s_waitcnt lgkmcnt(0)
	buffer_store_dwordx2 v[2:3], v7, s[0:3], 0 offen
	v_cvt_f16_f32_e32 v2, v14
	v_cvt_f16_f32_e32 v3, v15
	buffer_store_dwordx2 v[4:5], v6, s[0:3], 0 offen
	v_cvt_f16_f32_e32 v4, v16
	v_cvt_f16_f32_e32 v5, v17
	s_waitcnt lgkmcnt(0)
	s_barrier
	ds_write_b16 v0, v2
	ds_write_b16 v0, v3 offset:128
	ds_write_b16 v0, v4 offset:256
	;; [unrolled: 1-line block ×3, first 2 shown]
	v_cvt_f16_f32_e32 v2, v13
	v_cvt_f16_f32_e32 v3, v12
	;; [unrolled: 1-line block ×4, first 2 shown]
	ds_write_b16 v0, v2 offset:448
	ds_write_b16 v0, v3 offset:320
	;; [unrolled: 1-line block ×4, first 2 shown]
	s_waitcnt lgkmcnt(0)
	s_barrier
	ds_read2_b64 v[0:3], v1 offset1:16
	v_add_u32_e32 v4, 0xffffff80, v7
	s_waitcnt lgkmcnt(0)
	buffer_store_dwordx2 v[0:1], v4, s[0:3], 0 offen
	v_add_u32_e32 v0, 0xffffff80, v6
	buffer_store_dwordx2 v[2:3], v0, s[0:3], 0 offen
	s_endpgm
	.section	.rodata,"a",@progbits
	.p2align	6, 0x0
	.amdhsa_kernel _ZN2ck27kernel_gemm_xdl_cshuffle_v1INS_43GridwiseGemm_k0mk1_k0nk1_mn_xdl_cshuffle_v1INS_13tensor_layout4gemm8RowMajorES4_S4_DF16_DF16_fDF16_DF16_NS_16tensor_operation12element_wise11PassThroughES7_S7_LNS5_6device18GemmSpecializationE0ELNS_25InMemoryDataOperationEnumE0ELi1ELi256ELi256ELi128ELi32ELi8ELi2ELi16ELi16ELi8ELi4ENS_8SequenceIJLi4ELi64ELi1EEEENSB_IJLi1ELi0ELi2EEEESD_Li2ELi8ELi8ELb0ELi1ENSB_IJLi8ELi32ELi1EEEENSB_IJLi0ELi2ELi1EEEESF_Li1ELi4ELi2ELb0ELi0ELi1ELi2ENSB_IJLi1ELi16ELi1ELi16EEEELi4ELNS_13LoopSchedulerE1ELNS_15PipelineVersionE0EDF16_DF16_EELb1EEEvNT_8ArgumentE
		.amdhsa_group_segment_fixed_size 24624
		.amdhsa_private_segment_fixed_size 0
		.amdhsa_kernarg_size 96
		.amdhsa_user_sgpr_count 6
		.amdhsa_user_sgpr_private_segment_buffer 1
		.amdhsa_user_sgpr_dispatch_ptr 0
		.amdhsa_user_sgpr_queue_ptr 0
		.amdhsa_user_sgpr_kernarg_segment_ptr 1
		.amdhsa_user_sgpr_dispatch_id 0
		.amdhsa_user_sgpr_flat_scratch_init 0
		.amdhsa_user_sgpr_kernarg_preload_length 0
		.amdhsa_user_sgpr_kernarg_preload_offset 0
		.amdhsa_user_sgpr_private_segment_size 0
		.amdhsa_uses_dynamic_stack 0
		.amdhsa_system_sgpr_private_segment_wavefront_offset 0
		.amdhsa_system_sgpr_workgroup_id_x 1
		.amdhsa_system_sgpr_workgroup_id_y 0
		.amdhsa_system_sgpr_workgroup_id_z 0
		.amdhsa_system_sgpr_workgroup_info 0
		.amdhsa_system_vgpr_workitem_id 0
		.amdhsa_next_free_vgpr 218
		.amdhsa_next_free_sgpr 28
		.amdhsa_accum_offset 220
		.amdhsa_reserve_vcc 0
		.amdhsa_reserve_flat_scratch 0
		.amdhsa_float_round_mode_32 0
		.amdhsa_float_round_mode_16_64 0
		.amdhsa_float_denorm_mode_32 3
		.amdhsa_float_denorm_mode_16_64 3
		.amdhsa_dx10_clamp 1
		.amdhsa_ieee_mode 1
		.amdhsa_fp16_overflow 0
		.amdhsa_tg_split 0
		.amdhsa_exception_fp_ieee_invalid_op 0
		.amdhsa_exception_fp_denorm_src 0
		.amdhsa_exception_fp_ieee_div_zero 0
		.amdhsa_exception_fp_ieee_overflow 0
		.amdhsa_exception_fp_ieee_underflow 0
		.amdhsa_exception_fp_ieee_inexact 0
		.amdhsa_exception_int_div_zero 0
	.end_amdhsa_kernel
	.section	.text._ZN2ck27kernel_gemm_xdl_cshuffle_v1INS_43GridwiseGemm_k0mk1_k0nk1_mn_xdl_cshuffle_v1INS_13tensor_layout4gemm8RowMajorES4_S4_DF16_DF16_fDF16_DF16_NS_16tensor_operation12element_wise11PassThroughES7_S7_LNS5_6device18GemmSpecializationE0ELNS_25InMemoryDataOperationEnumE0ELi1ELi256ELi256ELi128ELi32ELi8ELi2ELi16ELi16ELi8ELi4ENS_8SequenceIJLi4ELi64ELi1EEEENSB_IJLi1ELi0ELi2EEEESD_Li2ELi8ELi8ELb0ELi1ENSB_IJLi8ELi32ELi1EEEENSB_IJLi0ELi2ELi1EEEESF_Li1ELi4ELi2ELb0ELi0ELi1ELi2ENSB_IJLi1ELi16ELi1ELi16EEEELi4ELNS_13LoopSchedulerE1ELNS_15PipelineVersionE0EDF16_DF16_EELb1EEEvNT_8ArgumentE,"axG",@progbits,_ZN2ck27kernel_gemm_xdl_cshuffle_v1INS_43GridwiseGemm_k0mk1_k0nk1_mn_xdl_cshuffle_v1INS_13tensor_layout4gemm8RowMajorES4_S4_DF16_DF16_fDF16_DF16_NS_16tensor_operation12element_wise11PassThroughES7_S7_LNS5_6device18GemmSpecializationE0ELNS_25InMemoryDataOperationEnumE0ELi1ELi256ELi256ELi128ELi32ELi8ELi2ELi16ELi16ELi8ELi4ENS_8SequenceIJLi4ELi64ELi1EEEENSB_IJLi1ELi0ELi2EEEESD_Li2ELi8ELi8ELb0ELi1ENSB_IJLi8ELi32ELi1EEEENSB_IJLi0ELi2ELi1EEEESF_Li1ELi4ELi2ELb0ELi0ELi1ELi2ENSB_IJLi1ELi16ELi1ELi16EEEELi4ELNS_13LoopSchedulerE1ELNS_15PipelineVersionE0EDF16_DF16_EELb1EEEvNT_8ArgumentE,comdat
.Lfunc_end1:
	.size	_ZN2ck27kernel_gemm_xdl_cshuffle_v1INS_43GridwiseGemm_k0mk1_k0nk1_mn_xdl_cshuffle_v1INS_13tensor_layout4gemm8RowMajorES4_S4_DF16_DF16_fDF16_DF16_NS_16tensor_operation12element_wise11PassThroughES7_S7_LNS5_6device18GemmSpecializationE0ELNS_25InMemoryDataOperationEnumE0ELi1ELi256ELi256ELi128ELi32ELi8ELi2ELi16ELi16ELi8ELi4ENS_8SequenceIJLi4ELi64ELi1EEEENSB_IJLi1ELi0ELi2EEEESD_Li2ELi8ELi8ELb0ELi1ENSB_IJLi8ELi32ELi1EEEENSB_IJLi0ELi2ELi1EEEESF_Li1ELi4ELi2ELb0ELi0ELi1ELi2ENSB_IJLi1ELi16ELi1ELi16EEEELi4ELNS_13LoopSchedulerE1ELNS_15PipelineVersionE0EDF16_DF16_EELb1EEEvNT_8ArgumentE, .Lfunc_end1-_ZN2ck27kernel_gemm_xdl_cshuffle_v1INS_43GridwiseGemm_k0mk1_k0nk1_mn_xdl_cshuffle_v1INS_13tensor_layout4gemm8RowMajorES4_S4_DF16_DF16_fDF16_DF16_NS_16tensor_operation12element_wise11PassThroughES7_S7_LNS5_6device18GemmSpecializationE0ELNS_25InMemoryDataOperationEnumE0ELi1ELi256ELi256ELi128ELi32ELi8ELi2ELi16ELi16ELi8ELi4ENS_8SequenceIJLi4ELi64ELi1EEEENSB_IJLi1ELi0ELi2EEEESD_Li2ELi8ELi8ELb0ELi1ENSB_IJLi8ELi32ELi1EEEENSB_IJLi0ELi2ELi1EEEESF_Li1ELi4ELi2ELb0ELi0ELi1ELi2ENSB_IJLi1ELi16ELi1ELi16EEEELi4ELNS_13LoopSchedulerE1ELNS_15PipelineVersionE0EDF16_DF16_EELb1EEEvNT_8ArgumentE
                                        ; -- End function
	.section	.AMDGPU.csdata,"",@progbits
; Kernel info:
; codeLenInByte = 6100
; NumSgprs: 32
; NumVgprs: 218
; NumAgprs: 0
; TotalNumVgprs: 218
; ScratchSize: 0
; MemoryBound: 0
; FloatMode: 240
; IeeeMode: 1
; LDSByteSize: 24624 bytes/workgroup (compile time only)
; SGPRBlocks: 3
; VGPRBlocks: 27
; NumSGPRsForWavesPerEU: 32
; NumVGPRsForWavesPerEU: 218
; AccumOffset: 220
; Occupancy: 2
; WaveLimiterHint : 0
; COMPUTE_PGM_RSRC2:SCRATCH_EN: 0
; COMPUTE_PGM_RSRC2:USER_SGPR: 6
; COMPUTE_PGM_RSRC2:TRAP_HANDLER: 0
; COMPUTE_PGM_RSRC2:TGID_X_EN: 1
; COMPUTE_PGM_RSRC2:TGID_Y_EN: 0
; COMPUTE_PGM_RSRC2:TGID_Z_EN: 0
; COMPUTE_PGM_RSRC2:TIDIG_COMP_CNT: 0
; COMPUTE_PGM_RSRC3_GFX90A:ACCUM_OFFSET: 54
; COMPUTE_PGM_RSRC3_GFX90A:TG_SPLIT: 0
	.section	.text._ZN2ck27kernel_gemm_xdl_cshuffle_v1INS_43GridwiseGemm_k0mk1_k0nk1_mn_xdl_cshuffle_v1INS_13tensor_layout4gemm8RowMajorES4_S4_DF16_DF16_fDF16_DF16_NS_16tensor_operation12element_wise11PassThroughES7_S7_LNS5_6device18GemmSpecializationE0ELNS_25InMemoryDataOperationEnumE0ELi1ELi256ELi256ELi128ELi32ELi8ELi2ELi16ELi16ELi8ELi4ENS_8SequenceIJLi4ELi64ELi1EEEENSB_IJLi1ELi0ELi2EEEESD_Li2ELi8ELi8ELb0ELi1ENSB_IJLi8ELi32ELi1EEEENSB_IJLi0ELi2ELi1EEEESF_Li1ELi4ELi2ELb0ELi0ELi1ELi2ENSB_IJLi1ELi16ELi1ELi16EEEELi4ELNS_13LoopSchedulerE1ELNS_15PipelineVersionE0EDF16_DF16_EELb0EEEvNT_8ArgumentE,"axG",@progbits,_ZN2ck27kernel_gemm_xdl_cshuffle_v1INS_43GridwiseGemm_k0mk1_k0nk1_mn_xdl_cshuffle_v1INS_13tensor_layout4gemm8RowMajorES4_S4_DF16_DF16_fDF16_DF16_NS_16tensor_operation12element_wise11PassThroughES7_S7_LNS5_6device18GemmSpecializationE0ELNS_25InMemoryDataOperationEnumE0ELi1ELi256ELi256ELi128ELi32ELi8ELi2ELi16ELi16ELi8ELi4ENS_8SequenceIJLi4ELi64ELi1EEEENSB_IJLi1ELi0ELi2EEEESD_Li2ELi8ELi8ELb0ELi1ENSB_IJLi8ELi32ELi1EEEENSB_IJLi0ELi2ELi1EEEESF_Li1ELi4ELi2ELb0ELi0ELi1ELi2ENSB_IJLi1ELi16ELi1ELi16EEEELi4ELNS_13LoopSchedulerE1ELNS_15PipelineVersionE0EDF16_DF16_EELb0EEEvNT_8ArgumentE,comdat
	.protected	_ZN2ck27kernel_gemm_xdl_cshuffle_v1INS_43GridwiseGemm_k0mk1_k0nk1_mn_xdl_cshuffle_v1INS_13tensor_layout4gemm8RowMajorES4_S4_DF16_DF16_fDF16_DF16_NS_16tensor_operation12element_wise11PassThroughES7_S7_LNS5_6device18GemmSpecializationE0ELNS_25InMemoryDataOperationEnumE0ELi1ELi256ELi256ELi128ELi32ELi8ELi2ELi16ELi16ELi8ELi4ENS_8SequenceIJLi4ELi64ELi1EEEENSB_IJLi1ELi0ELi2EEEESD_Li2ELi8ELi8ELb0ELi1ENSB_IJLi8ELi32ELi1EEEENSB_IJLi0ELi2ELi1EEEESF_Li1ELi4ELi2ELb0ELi0ELi1ELi2ENSB_IJLi1ELi16ELi1ELi16EEEELi4ELNS_13LoopSchedulerE1ELNS_15PipelineVersionE0EDF16_DF16_EELb0EEEvNT_8ArgumentE ; -- Begin function _ZN2ck27kernel_gemm_xdl_cshuffle_v1INS_43GridwiseGemm_k0mk1_k0nk1_mn_xdl_cshuffle_v1INS_13tensor_layout4gemm8RowMajorES4_S4_DF16_DF16_fDF16_DF16_NS_16tensor_operation12element_wise11PassThroughES7_S7_LNS5_6device18GemmSpecializationE0ELNS_25InMemoryDataOperationEnumE0ELi1ELi256ELi256ELi128ELi32ELi8ELi2ELi16ELi16ELi8ELi4ENS_8SequenceIJLi4ELi64ELi1EEEENSB_IJLi1ELi0ELi2EEEESD_Li2ELi8ELi8ELb0ELi1ENSB_IJLi8ELi32ELi1EEEENSB_IJLi0ELi2ELi1EEEESF_Li1ELi4ELi2ELb0ELi0ELi1ELi2ENSB_IJLi1ELi16ELi1ELi16EEEELi4ELNS_13LoopSchedulerE1ELNS_15PipelineVersionE0EDF16_DF16_EELb0EEEvNT_8ArgumentE
	.globl	_ZN2ck27kernel_gemm_xdl_cshuffle_v1INS_43GridwiseGemm_k0mk1_k0nk1_mn_xdl_cshuffle_v1INS_13tensor_layout4gemm8RowMajorES4_S4_DF16_DF16_fDF16_DF16_NS_16tensor_operation12element_wise11PassThroughES7_S7_LNS5_6device18GemmSpecializationE0ELNS_25InMemoryDataOperationEnumE0ELi1ELi256ELi256ELi128ELi32ELi8ELi2ELi16ELi16ELi8ELi4ENS_8SequenceIJLi4ELi64ELi1EEEENSB_IJLi1ELi0ELi2EEEESD_Li2ELi8ELi8ELb0ELi1ENSB_IJLi8ELi32ELi1EEEENSB_IJLi0ELi2ELi1EEEESF_Li1ELi4ELi2ELb0ELi0ELi1ELi2ENSB_IJLi1ELi16ELi1ELi16EEEELi4ELNS_13LoopSchedulerE1ELNS_15PipelineVersionE0EDF16_DF16_EELb0EEEvNT_8ArgumentE
	.p2align	8
	.type	_ZN2ck27kernel_gemm_xdl_cshuffle_v1INS_43GridwiseGemm_k0mk1_k0nk1_mn_xdl_cshuffle_v1INS_13tensor_layout4gemm8RowMajorES4_S4_DF16_DF16_fDF16_DF16_NS_16tensor_operation12element_wise11PassThroughES7_S7_LNS5_6device18GemmSpecializationE0ELNS_25InMemoryDataOperationEnumE0ELi1ELi256ELi256ELi128ELi32ELi8ELi2ELi16ELi16ELi8ELi4ENS_8SequenceIJLi4ELi64ELi1EEEENSB_IJLi1ELi0ELi2EEEESD_Li2ELi8ELi8ELb0ELi1ENSB_IJLi8ELi32ELi1EEEENSB_IJLi0ELi2ELi1EEEESF_Li1ELi4ELi2ELb0ELi0ELi1ELi2ENSB_IJLi1ELi16ELi1ELi16EEEELi4ELNS_13LoopSchedulerE1ELNS_15PipelineVersionE0EDF16_DF16_EELb0EEEvNT_8ArgumentE,@function
_ZN2ck27kernel_gemm_xdl_cshuffle_v1INS_43GridwiseGemm_k0mk1_k0nk1_mn_xdl_cshuffle_v1INS_13tensor_layout4gemm8RowMajorES4_S4_DF16_DF16_fDF16_DF16_NS_16tensor_operation12element_wise11PassThroughES7_S7_LNS5_6device18GemmSpecializationE0ELNS_25InMemoryDataOperationEnumE0ELi1ELi256ELi256ELi128ELi32ELi8ELi2ELi16ELi16ELi8ELi4ENS_8SequenceIJLi4ELi64ELi1EEEENSB_IJLi1ELi0ELi2EEEESD_Li2ELi8ELi8ELb0ELi1ENSB_IJLi8ELi32ELi1EEEENSB_IJLi0ELi2ELi1EEEESF_Li1ELi4ELi2ELb0ELi0ELi1ELi2ENSB_IJLi1ELi16ELi1ELi16EEEELi4ELNS_13LoopSchedulerE1ELNS_15PipelineVersionE0EDF16_DF16_EELb0EEEvNT_8ArgumentE: ; @_ZN2ck27kernel_gemm_xdl_cshuffle_v1INS_43GridwiseGemm_k0mk1_k0nk1_mn_xdl_cshuffle_v1INS_13tensor_layout4gemm8RowMajorES4_S4_DF16_DF16_fDF16_DF16_NS_16tensor_operation12element_wise11PassThroughES7_S7_LNS5_6device18GemmSpecializationE0ELNS_25InMemoryDataOperationEnumE0ELi1ELi256ELi256ELi128ELi32ELi8ELi2ELi16ELi16ELi8ELi4ENS_8SequenceIJLi4ELi64ELi1EEEENSB_IJLi1ELi0ELi2EEEESD_Li2ELi8ELi8ELb0ELi1ENSB_IJLi8ELi32ELi1EEEENSB_IJLi0ELi2ELi1EEEESF_Li1ELi4ELi2ELb0ELi0ELi1ELi2ENSB_IJLi1ELi16ELi1ELi16EEEELi4ELNS_13LoopSchedulerE1ELNS_15PipelineVersionE0EDF16_DF16_EELb0EEEvNT_8ArgumentE
; %bb.0:
	s_load_dwordx4 s[8:11], s[4:5], 0x10
	s_load_dwordx2 s[16:17], s[4:5], 0x20
	s_add_u32 s0, 0, 0
	v_lshrrev_b32_e32 v3, 4, v0
	v_and_b32_e32 v26, 3, v0
	s_waitcnt lgkmcnt(0)
	s_addc_u32 s2, s10, 0x7fffffff
	s_add_u32 s0, 0, 0
	s_addc_u32 s18, s8, -1
	s_add_i32 s1, s8, 0xff
	s_ashr_i32 s3, s1, 31
	s_lshr_b32 s3, s3, 24
	s_add_i32 s0, s9, 0x7f
	s_add_i32 s1, s1, s3
	s_ashr_i32 s3, s1, 8
	s_ashr_i32 s1, s0, 31
	s_lshr_b32 s1, s1, 25
	s_add_i32 s0, s0, s1
	s_ashr_i32 s7, s0, 7
	s_mul_i32 s0, s7, s3
	s_abs_i32 s0, s0
	v_cvt_f32_u32_e32 v1, s0
	s_ashr_i32 s8, s6, 31
	s_abs_i32 s1, s6
	s_sub_i32 s6, 0, s0
	v_rcp_iflag_f32_e32 v1, v1
	s_mul_i32 s20, s2, s16
	v_and_b32_e32 v27, 14, v3
	v_lshlrev_b32_e32 v154, 2, v0
	v_mul_f32_e32 v1, 0x4f7ffffe, v1
	v_cvt_u32_f32_e32 v1, v1
	v_mul_lo_u32 v3, v27, s16
	v_and_b32_e32 v28, 0x7c, v154
	v_lshlrev_b32_e32 v3, 1, v3
	v_readfirstlane_b32 s12, v1
	s_mul_i32 s6, s6, s12
	s_mul_hi_u32 s6, s12, s6
	s_add_i32 s12, s12, s6
	s_mul_hi_u32 s6, s1, s12
	s_mul_i32 s6, s6, s0
	s_sub_i32 s1, s1, s6
	s_sub_i32 s6, s1, s0
	s_cmp_ge_u32 s1, s0
	s_cselect_b32 s1, s6, s1
	s_sub_i32 s6, s1, s0
	s_cmp_ge_u32 s1, s0
	s_cselect_b32 s6, s6, s1
	s_abs_i32 s19, s7
	v_cvt_f32_u32_e32 v1, s19
	s_xor_b32 s2, s6, s8
	s_sub_i32 s2, s2, s8
	s_sub_i32 s8, 0, s19
	v_rcp_iflag_f32_e32 v1, v1
	s_abs_i32 s6, s2
	s_load_dwordx4 s[12:15], s[4:5], 0x48
	s_load_dwordx2 s[0:1], s[4:5], 0x58
	s_xor_b32 s5, s2, s7
	v_mul_f32_e32 v1, 0x4f7ffffe, v1
	v_cvt_u32_f32_e32 v1, v1
	s_ashr_i32 s5, s5, 31
	s_mul_i32 s4, s18, s11
	v_bfe_u32 v31, v0, 4, 2
	v_readfirstlane_b32 s21, v1
	s_mul_i32 s8, s8, s21
	s_mul_hi_u32 s8, s21, s8
	s_add_i32 s21, s21, s8
	s_mul_hi_u32 s8, s6, s21
	s_mul_i32 s21, s8, s19
	s_sub_i32 s6, s6, s21
	s_add_i32 s21, s8, 1
	s_sub_i32 s22, s6, s19
	s_cmp_ge_u32 s6, s19
	s_cselect_b32 s8, s21, s8
	s_cselect_b32 s6, s22, s6
	s_add_i32 s21, s8, 1
	s_cmp_ge_u32 s6, s19
	s_cselect_b32 s6, s21, s8
	s_xor_b32 s6, s6, s5
	s_sub_i32 s5, s6, s5
	s_lshr_b32 s6, s3, 29
	s_add_i32 s6, s3, s6
	s_and_b32 s6, s6, -8
	s_sub_i32 s3, s3, s6
	s_cmp_ge_i32 s5, s6
	s_cselect_b32 s3, s3, 8
	s_abs_i32 s8, s3
	v_cvt_f32_u32_e32 v1, s8
	s_mul_i32 s6, s5, s7
	s_sub_i32 s2, s2, s6
	s_ashr_i32 s6, s5, 31
	v_rcp_iflag_f32_e32 v1, v1
	s_lshr_b32 s6, s6, 29
	s_add_i32 s6, s5, s6
	s_and_b32 s6, s6, -8
	v_mul_f32_e32 v1, 0x4f7ffffe, v1
	v_cvt_u32_f32_e32 v1, v1
	s_sub_i32 s6, s5, s6
	s_sub_i32 s21, 0, s8
	s_mul_i32 s7, s6, s7
	v_readfirstlane_b32 s22, v1
	s_mul_i32 s21, s21, s22
	s_add_i32 s7, s7, s2
	s_mul_hi_u32 s21, s22, s21
	s_abs_i32 s19, s7
	s_add_i32 s22, s22, s21
	s_mul_hi_u32 s21, s19, s22
	s_mul_i32 s22, s21, s8
	s_xor_b32 s2, s7, s3
	s_sub_i32 s19, s19, s22
	s_ashr_i32 s2, s2, 31
	s_add_i32 s22, s21, 1
	s_sub_i32 s23, s19, s8
	s_cmp_ge_u32 s19, s8
	s_cselect_b32 s21, s22, s21
	s_cselect_b32 s19, s23, s19
	s_add_i32 s22, s21, 1
	s_cmp_ge_u32 s19, s8
	s_cselect_b32 s8, s22, s21
	s_xor_b32 s8, s8, s2
	s_sub_i32 s8, s8, s2
	s_mul_i32 s2, s8, s3
	s_sub_i32 s2, s7, s2
	s_add_i32 s2, s2, s5
	s_sub_i32 s2, s2, s6
	s_lshl_b32 s2, s2, 8
	v_and_b32_e32 v1, 0xfc, v0
	v_add_u32_e32 v2, s2, v1
	v_mul_lo_u32 v2, v2, s11
	v_lshl_add_u32 v2, v26, 3, v2
	s_add_i32 s4, s10, s4
	s_lshl_b32 s3, s8, 7
	s_lshl_b32 s6, s4, 1
	s_mov_b32 s7, 0x20000
	s_waitcnt lgkmcnt(0)
	s_mov_b32 s4, s12
	s_mov_b32 s5, s13
	v_lshlrev_b32_e32 v10, 1, v2
	v_add_u32_e32 v11, s11, v2
	v_add3_u32 v22, v3, v28, s3
	v_lshlrev_b32_e32 v12, 1, v11
	buffer_load_dwordx4 v[2:5], v10, s[4:7], 0 offen
	buffer_load_dwordx4 v[6:9], v12, s[4:7], 0 offen
	v_add_u32_e32 v10, s11, v11
	v_lshlrev_b32_e32 v18, 1, v10
	v_add_lshl_u32 v19, v10, s11, 1
	buffer_load_dwordx4 v[10:13], v18, s[4:7], 0 offen
	buffer_load_dwordx4 v[14:17], v19, s[4:7], 0 offen
	s_add_i32 s4, s9, s20
	v_add_u32_e32 v24, s16, v22
	s_lshl_b32 s8, s16, 1
	s_lshl_b32 s6, s4, 1
	s_mov_b32 s4, s14
	s_mov_b32 s5, s15
	v_lshlrev_b32_e32 v23, 1, v22
	v_lshlrev_b32_e32 v25, 1, v24
	v_add_lshl_u32 v29, v24, s8, 1
	buffer_load_dwordx2 v[18:19], v23, s[4:7], 0 offen
	buffer_load_dwordx2 v[20:21], v25, s[4:7], 0 offen
	v_add_lshl_u32 v30, s8, v22, 1
	buffer_load_dwordx2 v[22:23], v29, s[4:7], 0 offen
	buffer_load_dwordx2 v[24:25], v30, s[4:7], 0 offen
	v_and_b32_e32 v29, 63, v0
	v_and_b32_e32 v30, 48, v0
	s_movk_i32 s4, 0x1010
	v_and_b32_e32 v32, 0x80, v0
	v_sub_u32_e32 v29, v29, v30
	v_lshlrev_b32_e32 v1, 4, v1
	s_mov_b32 s5, 0x5040100
	s_mov_b32 s6, 0x7060302
	v_lshlrev_b32_e32 v30, 1, v32
	v_mul_u32_u24_e32 v31, 0x1010, v31
	v_mad_u32_u24 v1, v26, s4, v1
	v_lshlrev_b32_e32 v26, 2, v28
	v_lshlrev_b32_e32 v28, 4, v29
	v_lshl_or_b32 v26, v27, 9, v26
	v_add3_u32 v27, v28, v30, v31
	s_mul_i32 s18, s18, s17
	s_waitcnt vmcnt(7)
	ds_write_b128 v1, v[2:5]
	s_waitcnt vmcnt(6)
	ds_write_b128 v1, v[6:9] offset:16
	s_waitcnt vmcnt(5)
	ds_write_b128 v1, v[10:13] offset:32
	;; [unrolled: 2-line block ×3, first 2 shown]
	v_mad_i32_i24 v1, v29, -12, v28
	s_waitcnt vmcnt(2)
	v_perm_b32 v2, v20, v18, s5
	v_perm_b32 v3, v20, v18, s6
	;; [unrolled: 1-line block ×4, first 2 shown]
	s_waitcnt vmcnt(0)
	v_perm_b32 v6, v22, v24, s5
	v_perm_b32 v7, v22, v24, s6
	;; [unrolled: 1-line block ×4, first 2 shown]
	ds_write_b128 v26, v[6:9] offset:16944
	ds_write_b128 v26, v[2:5] offset:16432
	s_waitcnt lgkmcnt(0)
	s_barrier
	ds_read_b128 v[2:5], v27
	ds_read_b128 v[6:9], v27 offset:512
	ds_read_b128 v[10:13], v27 offset:1024
	;; [unrolled: 1-line block ×7, first 2 shown]
	v_lshlrev_b32_e32 v27, 7, v0
	v_and_b32_e32 v26, 64, v0
	v_and_b32_e32 v27, 0x1800, v27
	v_add3_u32 v1, v1, v26, v27
	v_add_u32_e32 v26, 0x4000, v1
	v_add_u32_e32 v1, 0x4400, v1
	ds_read2_b32 v[30:31], v26 offset0:12 offset1:44
	ds_read2_b32 v[138:139], v26 offset0:140 offset1:172
	;; [unrolled: 1-line block ×8, first 2 shown]
	; sched_barrier mask(0x00000000)
	;;#ASMSTART
	s_barrier
	;;#ASMEND
	; sched_barrier mask(0x00000000)
	s_waitcnt lgkmcnt(7)
	v_mov_b32_e32 v146, v30
	s_waitcnt lgkmcnt(6)
	v_mov_b32_e32 v147, v138
	;; [unrolled: 2-line block ×4, first 2 shown]
	v_mfma_f32_16x16x16f16 v[26:29], v[2:3], v[146:147], 0
	s_nop 0
	v_mfma_f32_16x16x16f16 v[106:109], v[4:5], v[148:149], v[26:29]
	; sched_barrier mask(0x00000000)
	s_setprio 1
	; sched_barrier mask(0x00000000)
	v_mov_b32_e32 v138, v31
	v_mov_b32_e32 v140, v33
	s_waitcnt lgkmcnt(3)
	v_mov_b32_e32 v150, v34
	v_mfma_f32_16x16x16f16 v[26:29], v[2:3], v[138:139], 0
	s_waitcnt lgkmcnt(2)
	v_mov_b32_e32 v151, v142
	s_waitcnt lgkmcnt(1)
	v_mov_b32_e32 v152, v36
	;; [unrolled: 2-line block ×3, first 2 shown]
	v_mov_b32_e32 v142, v35
	v_mov_b32_e32 v144, v37
	v_mfma_f32_16x16x16f16 v[110:113], v[4:5], v[140:141], v[26:29]
	v_mfma_f32_16x16x16f16 v[26:29], v[2:3], v[150:151], 0
	;; [unrolled: 1-line block ×59, first 2 shown]
	; sched_barrier mask(0x00000000)
	s_waitcnt lgkmcnt(0)
	s_barrier
	; sched_barrier mask(0x00000000)
	v_mfma_f32_16x16x16f16 v[10:13], v[102:103], v[142:143], 0
	v_mfma_f32_16x16x16f16 v[10:13], v[104:105], v[144:145], v[10:13]
	; sched_barrier mask(0x00000000)
	s_setprio 0
	; sched_barrier mask(0x00000000)
	v_lshrrev_b32_e32 v1, 2, v0
	v_lshlrev_b32_e32 v98, 3, v0
	v_lshl_or_b32 v99, v0, 4, v0
	v_and_b32_e32 v1, 16, v1
	v_and_b32_e32 v98, 0x400, v98
	;; [unrolled: 1-line block ×3, first 2 shown]
	v_lshrrev_b32_e32 v0, 3, v0
	v_or3_b32 v1, v99, v98, v1
	v_and_b32_e32 v98, 30, v0
	v_and_b32_e32 v99, 60, v154
	v_or_b32_e32 v0, s3, v99
	v_or_b32_e32 v100, s2, v98
	v_mad_u64_u32 v[102:103], s[2:3], v100, s17, v[0:1]
	v_cvt_f16_f32_e32 v100, v106
	v_lshlrev_b32_e32 v0, 1, v1
	v_cvt_f16_f32_e32 v1, v107
	v_cvt_f16_f32_e32 v101, v108
	;; [unrolled: 1-line block ×3, first 2 shown]
	s_waitcnt lgkmcnt(0)
	s_barrier
	ds_write_b16 v0, v100
	ds_write_b16 v0, v1 offset:128
	ds_write_b16 v0, v101 offset:256
	;; [unrolled: 1-line block ×3, first 2 shown]
	v_cvt_f16_f32_e32 v1, v113
	v_cvt_f16_f32_e32 v100, v112
	;; [unrolled: 1-line block ×4, first 2 shown]
	ds_write_b16 v0, v1 offset:448
	ds_write_b16 v0, v100 offset:320
	;; [unrolled: 1-line block ×4, first 2 shown]
	v_lshlrev_b32_e32 v1, 1, v99
	v_lshl_or_b32 v1, v98, 7, v1
	s_waitcnt lgkmcnt(0)
	s_barrier
	ds_read2_b64 v[98:101], v1 offset1:16
	s_add_i32 s2, s9, s18
	s_lshl_b32 s2, s2, 1
	s_mov_b32 s3, s7
	v_lshlrev_b32_e32 v103, 1, v102
	v_add_u32_e32 v102, s17, v102
	s_waitcnt lgkmcnt(0)
	buffer_store_dwordx2 v[98:99], v103, s[0:3], 0 offen
	v_lshlrev_b32_e32 v98, 1, v102
	buffer_store_dwordx2 v[100:101], v98, s[0:3], 0 offen
	v_cvt_f16_f32_e32 v98, v114
	v_cvt_f16_f32_e32 v99, v115
	;; [unrolled: 1-line block ×4, first 2 shown]
	s_waitcnt lgkmcnt(0)
	s_barrier
	ds_write_b16 v0, v98
	ds_write_b16 v0, v99 offset:128
	ds_write_b16 v0, v100 offset:256
	;; [unrolled: 1-line block ×3, first 2 shown]
	v_cvt_f16_f32_e32 v98, v121
	v_cvt_f16_f32_e32 v99, v120
	v_cvt_f16_f32_e32 v100, v119
	v_cvt_f16_f32_e32 v101, v118
	ds_write_b16 v0, v98 offset:448
	ds_write_b16 v0, v99 offset:320
	;; [unrolled: 1-line block ×4, first 2 shown]
	s_waitcnt lgkmcnt(0)
	s_barrier
	ds_read2_b64 v[98:101], v1 offset1:16
	v_add_u32_e32 v102, 64, v102
	s_mul_i32 s4, s17, 31
	v_cvt_f16_f32_e32 v94, v94
	v_cvt_f16_f32_e32 v93, v93
	s_waitcnt lgkmcnt(0)
	buffer_store_dwordx2 v[98:99], v103, s[0:3], 0 offen offset:128
	v_lshlrev_b32_e32 v98, 1, v102
	buffer_store_dwordx2 v[100:101], v98, s[0:3], 0 offen
	v_cvt_f16_f32_e32 v98, v130
	v_cvt_f16_f32_e32 v99, v131
	;; [unrolled: 1-line block ×4, first 2 shown]
	s_waitcnt lgkmcnt(0)
	s_barrier
	ds_write_b16 v0, v98
	ds_write_b16 v0, v99 offset:128
	ds_write_b16 v0, v100 offset:256
	;; [unrolled: 1-line block ×3, first 2 shown]
	v_cvt_f16_f32_e32 v98, v137
	v_cvt_f16_f32_e32 v99, v136
	;; [unrolled: 1-line block ×4, first 2 shown]
	ds_write_b16 v0, v98 offset:448
	ds_write_b16 v0, v99 offset:320
	;; [unrolled: 1-line block ×4, first 2 shown]
	s_waitcnt lgkmcnt(0)
	s_barrier
	ds_read2_b64 v[98:101], v1 offset1:16
	v_add_u32_e32 v102, s4, v102
	v_lshlrev_b32_e32 v103, 1, v102
	v_add_u32_e32 v102, s17, v102
	v_cvt_f16_f32_e32 v95, v95
	s_waitcnt lgkmcnt(0)
	buffer_store_dwordx2 v[98:99], v103, s[0:3], 0 offen
	v_lshlrev_b32_e32 v98, 1, v102
	buffer_store_dwordx2 v[100:101], v98, s[0:3], 0 offen
	v_cvt_f16_f32_e32 v98, v122
	v_cvt_f16_f32_e32 v99, v123
	;; [unrolled: 1-line block ×4, first 2 shown]
	s_waitcnt lgkmcnt(0)
	s_barrier
	ds_write_b16 v0, v98
	ds_write_b16 v0, v99 offset:128
	ds_write_b16 v0, v100 offset:256
	;; [unrolled: 1-line block ×3, first 2 shown]
	v_cvt_f16_f32_e32 v98, v129
	v_cvt_f16_f32_e32 v99, v128
	;; [unrolled: 1-line block ×4, first 2 shown]
	ds_write_b16 v0, v98 offset:448
	ds_write_b16 v0, v99 offset:320
	;; [unrolled: 1-line block ×4, first 2 shown]
	s_waitcnt lgkmcnt(0)
	s_barrier
	ds_read2_b64 v[98:101], v1 offset1:16
	v_cvt_f16_f32_e32 v92, v92
	v_subrev_u32_e32 v102, 64, v102
	v_add_u32_e32 v103, 0xffffff80, v103
	v_cvt_f16_f32_e32 v96, v96
	v_cvt_f16_f32_e32 v91, v91
	s_waitcnt lgkmcnt(0)
	buffer_store_dwordx2 v[98:99], v103, s[0:3], 0 offen
	v_lshlrev_b32_e32 v98, 1, v102
	v_cvt_f16_f32_e32 v97, v97
	v_cvt_f16_f32_e32 v90, v90
	buffer_store_dwordx2 v[100:101], v98, s[0:3], 0 offen
	s_waitcnt lgkmcnt(0)
	s_barrier
	ds_write_b16 v0, v94
	ds_write_b16 v0, v95 offset:128
	ds_write_b16 v0, v96 offset:256
	;; [unrolled: 1-line block ×7, first 2 shown]
	s_waitcnt lgkmcnt(0)
	s_barrier
	ds_read2_b64 v[90:93], v1 offset1:16
	v_add_u32_e32 v94, s4, v102
	v_cvt_f16_f32_e32 v86, v86
	v_cvt_f16_f32_e32 v85, v85
	v_lshlrev_b32_e32 v95, 1, v94
	v_cvt_f16_f32_e32 v87, v87
	v_cvt_f16_f32_e32 v84, v84
	s_waitcnt lgkmcnt(0)
	buffer_store_dwordx2 v[90:91], v95, s[0:3], 0 offen
	v_add_u32_e32 v90, s17, v94
	v_cvt_f16_f32_e32 v88, v88
	v_cvt_f16_f32_e32 v83, v83
	v_lshlrev_b32_e32 v91, 1, v90
	v_cvt_f16_f32_e32 v89, v89
	v_cvt_f16_f32_e32 v82, v82
	buffer_store_dwordx2 v[92:93], v91, s[0:3], 0 offen
	s_waitcnt lgkmcnt(0)
	s_barrier
	ds_write_b16 v0, v86
	ds_write_b16 v0, v87 offset:128
	ds_write_b16 v0, v88 offset:256
	;; [unrolled: 1-line block ×7, first 2 shown]
	s_waitcnt lgkmcnt(0)
	s_barrier
	ds_read2_b64 v[82:85], v1 offset1:16
	v_cvt_f16_f32_e32 v78, v78
	v_cvt_f16_f32_e32 v77, v77
	v_cvt_f16_f32_e32 v79, v79
	v_cvt_f16_f32_e32 v76, v76
	v_add_u32_e32 v86, 64, v90
	v_cvt_f16_f32_e32 v80, v80
	v_cvt_f16_f32_e32 v75, v75
	s_waitcnt lgkmcnt(0)
	buffer_store_dwordx2 v[82:83], v95, s[0:3], 0 offen offset:128
	v_lshlrev_b32_e32 v82, 1, v86
	v_cvt_f16_f32_e32 v81, v81
	v_cvt_f16_f32_e32 v74, v74
	buffer_store_dwordx2 v[84:85], v82, s[0:3], 0 offen
	s_waitcnt lgkmcnt(0)
	s_barrier
	ds_write_b16 v0, v78
	ds_write_b16 v0, v79 offset:128
	ds_write_b16 v0, v80 offset:256
	;; [unrolled: 1-line block ×7, first 2 shown]
	s_waitcnt lgkmcnt(0)
	s_barrier
	ds_read2_b64 v[74:77], v1 offset1:16
	v_add_u32_e32 v78, s4, v86
	v_cvt_f16_f32_e32 v70, v70
	v_cvt_f16_f32_e32 v69, v69
	v_lshlrev_b32_e32 v79, 1, v78
	v_cvt_f16_f32_e32 v71, v71
	v_cvt_f16_f32_e32 v68, v68
	s_waitcnt lgkmcnt(0)
	buffer_store_dwordx2 v[74:75], v79, s[0:3], 0 offen
	v_add_u32_e32 v74, s17, v78
	v_cvt_f16_f32_e32 v72, v72
	v_cvt_f16_f32_e32 v67, v67
	v_lshlrev_b32_e32 v75, 1, v74
	v_cvt_f16_f32_e32 v73, v73
	v_cvt_f16_f32_e32 v66, v66
	buffer_store_dwordx2 v[76:77], v75, s[0:3], 0 offen
	s_waitcnt lgkmcnt(0)
	s_barrier
	ds_write_b16 v0, v70
	ds_write_b16 v0, v71 offset:128
	ds_write_b16 v0, v72 offset:256
	;; [unrolled: 1-line block ×7, first 2 shown]
	s_waitcnt lgkmcnt(0)
	s_barrier
	ds_read2_b64 v[66:69], v1 offset1:16
	v_cvt_f16_f32_e32 v62, v62
	v_cvt_f16_f32_e32 v61, v61
	;; [unrolled: 1-line block ×4, first 2 shown]
	v_subrev_u32_e32 v70, 64, v74
	v_add_u32_e32 v71, 0xffffff80, v79
	v_cvt_f16_f32_e32 v64, v64
	v_cvt_f16_f32_e32 v59, v59
	s_waitcnt lgkmcnt(0)
	buffer_store_dwordx2 v[66:67], v71, s[0:3], 0 offen
	v_lshlrev_b32_e32 v66, 1, v70
	v_cvt_f16_f32_e32 v65, v65
	v_cvt_f16_f32_e32 v58, v58
	buffer_store_dwordx2 v[68:69], v66, s[0:3], 0 offen
	s_waitcnt lgkmcnt(0)
	s_barrier
	ds_write_b16 v0, v62
	ds_write_b16 v0, v63 offset:128
	ds_write_b16 v0, v64 offset:256
	;; [unrolled: 1-line block ×7, first 2 shown]
	s_waitcnt lgkmcnt(0)
	s_barrier
	ds_read2_b64 v[58:61], v1 offset1:16
	v_add_u32_e32 v62, s4, v70
	v_cvt_f16_f32_e32 v54, v54
	v_cvt_f16_f32_e32 v53, v53
	v_lshlrev_b32_e32 v63, 1, v62
	v_cvt_f16_f32_e32 v55, v55
	v_cvt_f16_f32_e32 v52, v52
	s_waitcnt lgkmcnt(0)
	buffer_store_dwordx2 v[58:59], v63, s[0:3], 0 offen
	v_add_u32_e32 v58, s17, v62
	v_cvt_f16_f32_e32 v56, v56
	v_cvt_f16_f32_e32 v51, v51
	v_lshlrev_b32_e32 v59, 1, v58
	v_cvt_f16_f32_e32 v57, v57
	v_cvt_f16_f32_e32 v50, v50
	buffer_store_dwordx2 v[60:61], v59, s[0:3], 0 offen
	s_waitcnt lgkmcnt(0)
	s_barrier
	ds_write_b16 v0, v54
	ds_write_b16 v0, v55 offset:128
	ds_write_b16 v0, v56 offset:256
	;; [unrolled: 1-line block ×7, first 2 shown]
	s_waitcnt lgkmcnt(0)
	s_barrier
	ds_read2_b64 v[50:53], v1 offset1:16
	v_cvt_f16_f32_e32 v46, v46
	v_cvt_f16_f32_e32 v45, v45
	v_cvt_f16_f32_e32 v47, v47
	v_cvt_f16_f32_e32 v44, v44
	v_add_u32_e32 v54, 64, v58
	v_cvt_f16_f32_e32 v48, v48
	v_cvt_f16_f32_e32 v43, v43
	s_waitcnt lgkmcnt(0)
	buffer_store_dwordx2 v[50:51], v63, s[0:3], 0 offen offset:128
	v_lshlrev_b32_e32 v50, 1, v54
	v_cvt_f16_f32_e32 v49, v49
	v_cvt_f16_f32_e32 v42, v42
	buffer_store_dwordx2 v[52:53], v50, s[0:3], 0 offen
	s_waitcnt lgkmcnt(0)
	s_barrier
	ds_write_b16 v0, v46
	ds_write_b16 v0, v47 offset:128
	ds_write_b16 v0, v48 offset:256
	;; [unrolled: 1-line block ×7, first 2 shown]
	s_waitcnt lgkmcnt(0)
	s_barrier
	ds_read2_b64 v[42:45], v1 offset1:16
	v_add_u32_e32 v46, s4, v54
	v_cvt_f16_f32_e32 v38, v38
	v_cvt_f16_f32_e32 v37, v37
	v_lshlrev_b32_e32 v47, 1, v46
	v_cvt_f16_f32_e32 v39, v39
	v_cvt_f16_f32_e32 v36, v36
	s_waitcnt lgkmcnt(0)
	buffer_store_dwordx2 v[42:43], v47, s[0:3], 0 offen
	v_add_u32_e32 v42, s17, v46
	v_cvt_f16_f32_e32 v40, v40
	v_cvt_f16_f32_e32 v35, v35
	v_lshlrev_b32_e32 v43, 1, v42
	v_cvt_f16_f32_e32 v41, v41
	v_cvt_f16_f32_e32 v34, v34
	buffer_store_dwordx2 v[44:45], v43, s[0:3], 0 offen
	s_waitcnt lgkmcnt(0)
	s_barrier
	ds_write_b16 v0, v38
	ds_write_b16 v0, v39 offset:128
	ds_write_b16 v0, v40 offset:256
	;; [unrolled: 1-line block ×7, first 2 shown]
	s_waitcnt lgkmcnt(0)
	s_barrier
	ds_read2_b64 v[34:37], v1 offset1:16
	v_cvt_f16_f32_e32 v30, v30
	v_cvt_f16_f32_e32 v29, v29
	v_cvt_f16_f32_e32 v31, v31
	v_cvt_f16_f32_e32 v28, v28
	v_subrev_u32_e32 v38, 64, v42
	v_add_u32_e32 v39, 0xffffff80, v47
	v_cvt_f16_f32_e32 v32, v32
	v_cvt_f16_f32_e32 v27, v27
	s_waitcnt lgkmcnt(0)
	buffer_store_dwordx2 v[34:35], v39, s[0:3], 0 offen
	v_lshlrev_b32_e32 v34, 1, v38
	v_cvt_f16_f32_e32 v33, v33
	v_cvt_f16_f32_e32 v26, v26
	buffer_store_dwordx2 v[36:37], v34, s[0:3], 0 offen
	s_waitcnt lgkmcnt(0)
	s_barrier
	ds_write_b16 v0, v30
	ds_write_b16 v0, v31 offset:128
	ds_write_b16 v0, v32 offset:256
	;; [unrolled: 1-line block ×7, first 2 shown]
	s_waitcnt lgkmcnt(0)
	s_barrier
	ds_read2_b64 v[26:29], v1 offset1:16
	v_add_u32_e32 v30, s4, v38
	v_cvt_f16_f32_e32 v22, v22
	v_cvt_f16_f32_e32 v21, v21
	v_lshlrev_b32_e32 v31, 1, v30
	v_cvt_f16_f32_e32 v23, v23
	v_cvt_f16_f32_e32 v20, v20
	s_waitcnt lgkmcnt(0)
	buffer_store_dwordx2 v[26:27], v31, s[0:3], 0 offen
	v_add_u32_e32 v26, s17, v30
	v_cvt_f16_f32_e32 v24, v24
	v_cvt_f16_f32_e32 v19, v19
	v_lshlrev_b32_e32 v27, 1, v26
	v_cvt_f16_f32_e32 v25, v25
	v_cvt_f16_f32_e32 v18, v18
	buffer_store_dwordx2 v[28:29], v27, s[0:3], 0 offen
	s_waitcnt lgkmcnt(0)
	s_barrier
	ds_write_b16 v0, v22
	ds_write_b16 v0, v23 offset:128
	ds_write_b16 v0, v24 offset:256
	;; [unrolled: 1-line block ×7, first 2 shown]
	s_waitcnt lgkmcnt(0)
	s_barrier
	ds_read2_b64 v[18:21], v1 offset1:16
	v_cvt_f16_f32_e32 v14, v14
	v_cvt_f16_f32_e32 v13, v13
	;; [unrolled: 1-line block ×4, first 2 shown]
	v_add_u32_e32 v22, 64, v26
	v_cvt_f16_f32_e32 v16, v16
	v_cvt_f16_f32_e32 v11, v11
	s_waitcnt lgkmcnt(0)
	buffer_store_dwordx2 v[18:19], v31, s[0:3], 0 offen offset:128
	v_lshlrev_b32_e32 v18, 1, v22
	v_cvt_f16_f32_e32 v17, v17
	v_cvt_f16_f32_e32 v10, v10
	buffer_store_dwordx2 v[20:21], v18, s[0:3], 0 offen
	s_waitcnt lgkmcnt(0)
	s_barrier
	ds_write_b16 v0, v14
	ds_write_b16 v0, v15 offset:128
	ds_write_b16 v0, v16 offset:256
	;; [unrolled: 1-line block ×7, first 2 shown]
	s_waitcnt lgkmcnt(0)
	s_barrier
	ds_read2_b64 v[10:13], v1 offset1:16
	v_cvt_f16_f32_e32 v6, v6
	v_cvt_f16_f32_e32 v5, v5
	v_add_u32_e32 v14, s4, v22
	v_cvt_f16_f32_e32 v7, v7
	v_cvt_f16_f32_e32 v4, v4
	v_lshlrev_b32_e32 v15, 1, v14
	v_cvt_f16_f32_e32 v8, v8
	v_cvt_f16_f32_e32 v3, v3
	s_waitcnt lgkmcnt(0)
	buffer_store_dwordx2 v[10:11], v15, s[0:3], 0 offen
	v_add_lshl_u32 v10, v14, s17, 1
	v_cvt_f16_f32_e32 v9, v9
	v_cvt_f16_f32_e32 v2, v2
	buffer_store_dwordx2 v[12:13], v10, s[0:3], 0 offen
	s_waitcnt lgkmcnt(0)
	s_barrier
	ds_write_b16 v0, v6
	ds_write_b16 v0, v7 offset:128
	ds_write_b16 v0, v8 offset:256
	;; [unrolled: 1-line block ×7, first 2 shown]
	s_waitcnt lgkmcnt(0)
	s_barrier
	ds_read2_b64 v[0:3], v1 offset1:16
	v_add_u32_e32 v4, 0xffffff80, v15
	s_waitcnt lgkmcnt(0)
	buffer_store_dwordx2 v[0:1], v4, s[0:3], 0 offen
	v_add_u32_e32 v0, 0xffffff80, v10
	buffer_store_dwordx2 v[2:3], v0, s[0:3], 0 offen
	s_endpgm
	.section	.rodata,"a",@progbits
	.p2align	6, 0x0
	.amdhsa_kernel _ZN2ck27kernel_gemm_xdl_cshuffle_v1INS_43GridwiseGemm_k0mk1_k0nk1_mn_xdl_cshuffle_v1INS_13tensor_layout4gemm8RowMajorES4_S4_DF16_DF16_fDF16_DF16_NS_16tensor_operation12element_wise11PassThroughES7_S7_LNS5_6device18GemmSpecializationE0ELNS_25InMemoryDataOperationEnumE0ELi1ELi256ELi256ELi128ELi32ELi8ELi2ELi16ELi16ELi8ELi4ENS_8SequenceIJLi4ELi64ELi1EEEENSB_IJLi1ELi0ELi2EEEESD_Li2ELi8ELi8ELb0ELi1ENSB_IJLi8ELi32ELi1EEEENSB_IJLi0ELi2ELi1EEEESF_Li1ELi4ELi2ELb0ELi0ELi1ELi2ENSB_IJLi1ELi16ELi1ELi16EEEELi4ELNS_13LoopSchedulerE1ELNS_15PipelineVersionE0EDF16_DF16_EELb0EEEvNT_8ArgumentE
		.amdhsa_group_segment_fixed_size 24624
		.amdhsa_private_segment_fixed_size 0
		.amdhsa_kernarg_size 96
		.amdhsa_user_sgpr_count 6
		.amdhsa_user_sgpr_private_segment_buffer 1
		.amdhsa_user_sgpr_dispatch_ptr 0
		.amdhsa_user_sgpr_queue_ptr 0
		.amdhsa_user_sgpr_kernarg_segment_ptr 1
		.amdhsa_user_sgpr_dispatch_id 0
		.amdhsa_user_sgpr_flat_scratch_init 0
		.amdhsa_user_sgpr_kernarg_preload_length 0
		.amdhsa_user_sgpr_kernarg_preload_offset 0
		.amdhsa_user_sgpr_private_segment_size 0
		.amdhsa_uses_dynamic_stack 0
		.amdhsa_system_sgpr_private_segment_wavefront_offset 0
		.amdhsa_system_sgpr_workgroup_id_x 1
		.amdhsa_system_sgpr_workgroup_id_y 0
		.amdhsa_system_sgpr_workgroup_id_z 0
		.amdhsa_system_sgpr_workgroup_info 0
		.amdhsa_system_vgpr_workitem_id 0
		.amdhsa_next_free_vgpr 155
		.amdhsa_next_free_sgpr 24
		.amdhsa_accum_offset 156
		.amdhsa_reserve_vcc 0
		.amdhsa_reserve_flat_scratch 0
		.amdhsa_float_round_mode_32 0
		.amdhsa_float_round_mode_16_64 0
		.amdhsa_float_denorm_mode_32 3
		.amdhsa_float_denorm_mode_16_64 3
		.amdhsa_dx10_clamp 1
		.amdhsa_ieee_mode 1
		.amdhsa_fp16_overflow 0
		.amdhsa_tg_split 0
		.amdhsa_exception_fp_ieee_invalid_op 0
		.amdhsa_exception_fp_denorm_src 0
		.amdhsa_exception_fp_ieee_div_zero 0
		.amdhsa_exception_fp_ieee_overflow 0
		.amdhsa_exception_fp_ieee_underflow 0
		.amdhsa_exception_fp_ieee_inexact 0
		.amdhsa_exception_int_div_zero 0
	.end_amdhsa_kernel
	.section	.text._ZN2ck27kernel_gemm_xdl_cshuffle_v1INS_43GridwiseGemm_k0mk1_k0nk1_mn_xdl_cshuffle_v1INS_13tensor_layout4gemm8RowMajorES4_S4_DF16_DF16_fDF16_DF16_NS_16tensor_operation12element_wise11PassThroughES7_S7_LNS5_6device18GemmSpecializationE0ELNS_25InMemoryDataOperationEnumE0ELi1ELi256ELi256ELi128ELi32ELi8ELi2ELi16ELi16ELi8ELi4ENS_8SequenceIJLi4ELi64ELi1EEEENSB_IJLi1ELi0ELi2EEEESD_Li2ELi8ELi8ELb0ELi1ENSB_IJLi8ELi32ELi1EEEENSB_IJLi0ELi2ELi1EEEESF_Li1ELi4ELi2ELb0ELi0ELi1ELi2ENSB_IJLi1ELi16ELi1ELi16EEEELi4ELNS_13LoopSchedulerE1ELNS_15PipelineVersionE0EDF16_DF16_EELb0EEEvNT_8ArgumentE,"axG",@progbits,_ZN2ck27kernel_gemm_xdl_cshuffle_v1INS_43GridwiseGemm_k0mk1_k0nk1_mn_xdl_cshuffle_v1INS_13tensor_layout4gemm8RowMajorES4_S4_DF16_DF16_fDF16_DF16_NS_16tensor_operation12element_wise11PassThroughES7_S7_LNS5_6device18GemmSpecializationE0ELNS_25InMemoryDataOperationEnumE0ELi1ELi256ELi256ELi128ELi32ELi8ELi2ELi16ELi16ELi8ELi4ENS_8SequenceIJLi4ELi64ELi1EEEENSB_IJLi1ELi0ELi2EEEESD_Li2ELi8ELi8ELb0ELi1ENSB_IJLi8ELi32ELi1EEEENSB_IJLi0ELi2ELi1EEEESF_Li1ELi4ELi2ELb0ELi0ELi1ELi2ENSB_IJLi1ELi16ELi1ELi16EEEELi4ELNS_13LoopSchedulerE1ELNS_15PipelineVersionE0EDF16_DF16_EELb0EEEvNT_8ArgumentE,comdat
.Lfunc_end2:
	.size	_ZN2ck27kernel_gemm_xdl_cshuffle_v1INS_43GridwiseGemm_k0mk1_k0nk1_mn_xdl_cshuffle_v1INS_13tensor_layout4gemm8RowMajorES4_S4_DF16_DF16_fDF16_DF16_NS_16tensor_operation12element_wise11PassThroughES7_S7_LNS5_6device18GemmSpecializationE0ELNS_25InMemoryDataOperationEnumE0ELi1ELi256ELi256ELi128ELi32ELi8ELi2ELi16ELi16ELi8ELi4ENS_8SequenceIJLi4ELi64ELi1EEEENSB_IJLi1ELi0ELi2EEEESD_Li2ELi8ELi8ELb0ELi1ENSB_IJLi8ELi32ELi1EEEENSB_IJLi0ELi2ELi1EEEESF_Li1ELi4ELi2ELb0ELi0ELi1ELi2ENSB_IJLi1ELi16ELi1ELi16EEEELi4ELNS_13LoopSchedulerE1ELNS_15PipelineVersionE0EDF16_DF16_EELb0EEEvNT_8ArgumentE, .Lfunc_end2-_ZN2ck27kernel_gemm_xdl_cshuffle_v1INS_43GridwiseGemm_k0mk1_k0nk1_mn_xdl_cshuffle_v1INS_13tensor_layout4gemm8RowMajorES4_S4_DF16_DF16_fDF16_DF16_NS_16tensor_operation12element_wise11PassThroughES7_S7_LNS5_6device18GemmSpecializationE0ELNS_25InMemoryDataOperationEnumE0ELi1ELi256ELi256ELi128ELi32ELi8ELi2ELi16ELi16ELi8ELi4ENS_8SequenceIJLi4ELi64ELi1EEEENSB_IJLi1ELi0ELi2EEEESD_Li2ELi8ELi8ELb0ELi1ENSB_IJLi8ELi32ELi1EEEENSB_IJLi0ELi2ELi1EEEESF_Li1ELi4ELi2ELb0ELi0ELi1ELi2ENSB_IJLi1ELi16ELi1ELi16EEEELi4ELNS_13LoopSchedulerE1ELNS_15PipelineVersionE0EDF16_DF16_EELb0EEEvNT_8ArgumentE
                                        ; -- End function
	.section	.AMDGPU.csdata,"",@progbits
; Kernel info:
; codeLenInByte = 4360
; NumSgprs: 28
; NumVgprs: 155
; NumAgprs: 0
; TotalNumVgprs: 155
; ScratchSize: 0
; MemoryBound: 0
; FloatMode: 240
; IeeeMode: 1
; LDSByteSize: 24624 bytes/workgroup (compile time only)
; SGPRBlocks: 3
; VGPRBlocks: 19
; NumSGPRsForWavesPerEU: 28
; NumVGPRsForWavesPerEU: 155
; AccumOffset: 156
; Occupancy: 2
; WaveLimiterHint : 0
; COMPUTE_PGM_RSRC2:SCRATCH_EN: 0
; COMPUTE_PGM_RSRC2:USER_SGPR: 6
; COMPUTE_PGM_RSRC2:TRAP_HANDLER: 0
; COMPUTE_PGM_RSRC2:TGID_X_EN: 1
; COMPUTE_PGM_RSRC2:TGID_Y_EN: 0
; COMPUTE_PGM_RSRC2:TGID_Z_EN: 0
; COMPUTE_PGM_RSRC2:TIDIG_COMP_CNT: 0
; COMPUTE_PGM_RSRC3_GFX90A:ACCUM_OFFSET: 38
; COMPUTE_PGM_RSRC3_GFX90A:TG_SPLIT: 0
	.section	.text._ZN2ck27kernel_gemm_xdl_cshuffle_v1INS_43GridwiseGemm_k0mk1_k0nk1_mn_xdl_cshuffle_v1INS_13tensor_layout4gemm8RowMajorES4_S4_DF16_DF16_fDF16_DF16_NS_16tensor_operation12element_wise11PassThroughES7_S7_LNS5_6device18GemmSpecializationE0ELNS_25InMemoryDataOperationEnumE0ELi1ELi256ELi256ELi128ELi32ELi8ELi2ELi16ELi16ELi8ELi2ENS_8SequenceIJLi4ELi64ELi1EEEENSB_IJLi1ELi0ELi2EEEESD_Li2ELi8ELi8ELb0ELi1ENSB_IJLi8ELi32ELi1EEEENSB_IJLi0ELi2ELi1EEEESF_Li1ELi4ELi2ELb0ELi0ELi1ELi2ENSB_IJLi1ELi16ELi1ELi16EEEELi4ELNS_13LoopSchedulerE1ELNS_15PipelineVersionE0EDF16_DF16_EELb1EEEvNT_8ArgumentE,"axG",@progbits,_ZN2ck27kernel_gemm_xdl_cshuffle_v1INS_43GridwiseGemm_k0mk1_k0nk1_mn_xdl_cshuffle_v1INS_13tensor_layout4gemm8RowMajorES4_S4_DF16_DF16_fDF16_DF16_NS_16tensor_operation12element_wise11PassThroughES7_S7_LNS5_6device18GemmSpecializationE0ELNS_25InMemoryDataOperationEnumE0ELi1ELi256ELi256ELi128ELi32ELi8ELi2ELi16ELi16ELi8ELi2ENS_8SequenceIJLi4ELi64ELi1EEEENSB_IJLi1ELi0ELi2EEEESD_Li2ELi8ELi8ELb0ELi1ENSB_IJLi8ELi32ELi1EEEENSB_IJLi0ELi2ELi1EEEESF_Li1ELi4ELi2ELb0ELi0ELi1ELi2ENSB_IJLi1ELi16ELi1ELi16EEEELi4ELNS_13LoopSchedulerE1ELNS_15PipelineVersionE0EDF16_DF16_EELb1EEEvNT_8ArgumentE,comdat
	.protected	_ZN2ck27kernel_gemm_xdl_cshuffle_v1INS_43GridwiseGemm_k0mk1_k0nk1_mn_xdl_cshuffle_v1INS_13tensor_layout4gemm8RowMajorES4_S4_DF16_DF16_fDF16_DF16_NS_16tensor_operation12element_wise11PassThroughES7_S7_LNS5_6device18GemmSpecializationE0ELNS_25InMemoryDataOperationEnumE0ELi1ELi256ELi256ELi128ELi32ELi8ELi2ELi16ELi16ELi8ELi2ENS_8SequenceIJLi4ELi64ELi1EEEENSB_IJLi1ELi0ELi2EEEESD_Li2ELi8ELi8ELb0ELi1ENSB_IJLi8ELi32ELi1EEEENSB_IJLi0ELi2ELi1EEEESF_Li1ELi4ELi2ELb0ELi0ELi1ELi2ENSB_IJLi1ELi16ELi1ELi16EEEELi4ELNS_13LoopSchedulerE1ELNS_15PipelineVersionE0EDF16_DF16_EELb1EEEvNT_8ArgumentE ; -- Begin function _ZN2ck27kernel_gemm_xdl_cshuffle_v1INS_43GridwiseGemm_k0mk1_k0nk1_mn_xdl_cshuffle_v1INS_13tensor_layout4gemm8RowMajorES4_S4_DF16_DF16_fDF16_DF16_NS_16tensor_operation12element_wise11PassThroughES7_S7_LNS5_6device18GemmSpecializationE0ELNS_25InMemoryDataOperationEnumE0ELi1ELi256ELi256ELi128ELi32ELi8ELi2ELi16ELi16ELi8ELi2ENS_8SequenceIJLi4ELi64ELi1EEEENSB_IJLi1ELi0ELi2EEEESD_Li2ELi8ELi8ELb0ELi1ENSB_IJLi8ELi32ELi1EEEENSB_IJLi0ELi2ELi1EEEESF_Li1ELi4ELi2ELb0ELi0ELi1ELi2ENSB_IJLi1ELi16ELi1ELi16EEEELi4ELNS_13LoopSchedulerE1ELNS_15PipelineVersionE0EDF16_DF16_EELb1EEEvNT_8ArgumentE
	.globl	_ZN2ck27kernel_gemm_xdl_cshuffle_v1INS_43GridwiseGemm_k0mk1_k0nk1_mn_xdl_cshuffle_v1INS_13tensor_layout4gemm8RowMajorES4_S4_DF16_DF16_fDF16_DF16_NS_16tensor_operation12element_wise11PassThroughES7_S7_LNS5_6device18GemmSpecializationE0ELNS_25InMemoryDataOperationEnumE0ELi1ELi256ELi256ELi128ELi32ELi8ELi2ELi16ELi16ELi8ELi2ENS_8SequenceIJLi4ELi64ELi1EEEENSB_IJLi1ELi0ELi2EEEESD_Li2ELi8ELi8ELb0ELi1ENSB_IJLi8ELi32ELi1EEEENSB_IJLi0ELi2ELi1EEEESF_Li1ELi4ELi2ELb0ELi0ELi1ELi2ENSB_IJLi1ELi16ELi1ELi16EEEELi4ELNS_13LoopSchedulerE1ELNS_15PipelineVersionE0EDF16_DF16_EELb1EEEvNT_8ArgumentE
	.p2align	8
	.type	_ZN2ck27kernel_gemm_xdl_cshuffle_v1INS_43GridwiseGemm_k0mk1_k0nk1_mn_xdl_cshuffle_v1INS_13tensor_layout4gemm8RowMajorES4_S4_DF16_DF16_fDF16_DF16_NS_16tensor_operation12element_wise11PassThroughES7_S7_LNS5_6device18GemmSpecializationE0ELNS_25InMemoryDataOperationEnumE0ELi1ELi256ELi256ELi128ELi32ELi8ELi2ELi16ELi16ELi8ELi2ENS_8SequenceIJLi4ELi64ELi1EEEENSB_IJLi1ELi0ELi2EEEESD_Li2ELi8ELi8ELb0ELi1ENSB_IJLi8ELi32ELi1EEEENSB_IJLi0ELi2ELi1EEEESF_Li1ELi4ELi2ELb0ELi0ELi1ELi2ENSB_IJLi1ELi16ELi1ELi16EEEELi4ELNS_13LoopSchedulerE1ELNS_15PipelineVersionE0EDF16_DF16_EELb1EEEvNT_8ArgumentE,@function
_ZN2ck27kernel_gemm_xdl_cshuffle_v1INS_43GridwiseGemm_k0mk1_k0nk1_mn_xdl_cshuffle_v1INS_13tensor_layout4gemm8RowMajorES4_S4_DF16_DF16_fDF16_DF16_NS_16tensor_operation12element_wise11PassThroughES7_S7_LNS5_6device18GemmSpecializationE0ELNS_25InMemoryDataOperationEnumE0ELi1ELi256ELi256ELi128ELi32ELi8ELi2ELi16ELi16ELi8ELi2ENS_8SequenceIJLi4ELi64ELi1EEEENSB_IJLi1ELi0ELi2EEEESD_Li2ELi8ELi8ELb0ELi1ENSB_IJLi8ELi32ELi1EEEENSB_IJLi0ELi2ELi1EEEESF_Li1ELi4ELi2ELb0ELi0ELi1ELi2ENSB_IJLi1ELi16ELi1ELi16EEEELi4ELNS_13LoopSchedulerE1ELNS_15PipelineVersionE0EDF16_DF16_EELb1EEEvNT_8ArgumentE: ; @_ZN2ck27kernel_gemm_xdl_cshuffle_v1INS_43GridwiseGemm_k0mk1_k0nk1_mn_xdl_cshuffle_v1INS_13tensor_layout4gemm8RowMajorES4_S4_DF16_DF16_fDF16_DF16_NS_16tensor_operation12element_wise11PassThroughES7_S7_LNS5_6device18GemmSpecializationE0ELNS_25InMemoryDataOperationEnumE0ELi1ELi256ELi256ELi128ELi32ELi8ELi2ELi16ELi16ELi8ELi2ENS_8SequenceIJLi4ELi64ELi1EEEENSB_IJLi1ELi0ELi2EEEESD_Li2ELi8ELi8ELb0ELi1ENSB_IJLi8ELi32ELi1EEEENSB_IJLi0ELi2ELi1EEEESF_Li1ELi4ELi2ELb0ELi0ELi1ELi2ENSB_IJLi1ELi16ELi1ELi16EEEELi4ELNS_13LoopSchedulerE1ELNS_15PipelineVersionE0EDF16_DF16_EELb1EEEvNT_8ArgumentE
; %bb.0:
	s_endpgm
	.section	.rodata,"a",@progbits
	.p2align	6, 0x0
	.amdhsa_kernel _ZN2ck27kernel_gemm_xdl_cshuffle_v1INS_43GridwiseGemm_k0mk1_k0nk1_mn_xdl_cshuffle_v1INS_13tensor_layout4gemm8RowMajorES4_S4_DF16_DF16_fDF16_DF16_NS_16tensor_operation12element_wise11PassThroughES7_S7_LNS5_6device18GemmSpecializationE0ELNS_25InMemoryDataOperationEnumE0ELi1ELi256ELi256ELi128ELi32ELi8ELi2ELi16ELi16ELi8ELi2ENS_8SequenceIJLi4ELi64ELi1EEEENSB_IJLi1ELi0ELi2EEEESD_Li2ELi8ELi8ELb0ELi1ENSB_IJLi8ELi32ELi1EEEENSB_IJLi0ELi2ELi1EEEESF_Li1ELi4ELi2ELb0ELi0ELi1ELi2ENSB_IJLi1ELi16ELi1ELi16EEEELi4ELNS_13LoopSchedulerE1ELNS_15PipelineVersionE0EDF16_DF16_EELb1EEEvNT_8ArgumentE
		.amdhsa_group_segment_fixed_size 0
		.amdhsa_private_segment_fixed_size 0
		.amdhsa_kernarg_size 96
		.amdhsa_user_sgpr_count 6
		.amdhsa_user_sgpr_private_segment_buffer 1
		.amdhsa_user_sgpr_dispatch_ptr 0
		.amdhsa_user_sgpr_queue_ptr 0
		.amdhsa_user_sgpr_kernarg_segment_ptr 1
		.amdhsa_user_sgpr_dispatch_id 0
		.amdhsa_user_sgpr_flat_scratch_init 0
		.amdhsa_user_sgpr_kernarg_preload_length 0
		.amdhsa_user_sgpr_kernarg_preload_offset 0
		.amdhsa_user_sgpr_private_segment_size 0
		.amdhsa_uses_dynamic_stack 0
		.amdhsa_system_sgpr_private_segment_wavefront_offset 0
		.amdhsa_system_sgpr_workgroup_id_x 1
		.amdhsa_system_sgpr_workgroup_id_y 0
		.amdhsa_system_sgpr_workgroup_id_z 0
		.amdhsa_system_sgpr_workgroup_info 0
		.amdhsa_system_vgpr_workitem_id 0
		.amdhsa_next_free_vgpr 1
		.amdhsa_next_free_sgpr 0
		.amdhsa_accum_offset 4
		.amdhsa_reserve_vcc 0
		.amdhsa_reserve_flat_scratch 0
		.amdhsa_float_round_mode_32 0
		.amdhsa_float_round_mode_16_64 0
		.amdhsa_float_denorm_mode_32 3
		.amdhsa_float_denorm_mode_16_64 3
		.amdhsa_dx10_clamp 1
		.amdhsa_ieee_mode 1
		.amdhsa_fp16_overflow 0
		.amdhsa_tg_split 0
		.amdhsa_exception_fp_ieee_invalid_op 0
		.amdhsa_exception_fp_denorm_src 0
		.amdhsa_exception_fp_ieee_div_zero 0
		.amdhsa_exception_fp_ieee_overflow 0
		.amdhsa_exception_fp_ieee_underflow 0
		.amdhsa_exception_fp_ieee_inexact 0
		.amdhsa_exception_int_div_zero 0
	.end_amdhsa_kernel
	.section	.text._ZN2ck27kernel_gemm_xdl_cshuffle_v1INS_43GridwiseGemm_k0mk1_k0nk1_mn_xdl_cshuffle_v1INS_13tensor_layout4gemm8RowMajorES4_S4_DF16_DF16_fDF16_DF16_NS_16tensor_operation12element_wise11PassThroughES7_S7_LNS5_6device18GemmSpecializationE0ELNS_25InMemoryDataOperationEnumE0ELi1ELi256ELi256ELi128ELi32ELi8ELi2ELi16ELi16ELi8ELi2ENS_8SequenceIJLi4ELi64ELi1EEEENSB_IJLi1ELi0ELi2EEEESD_Li2ELi8ELi8ELb0ELi1ENSB_IJLi8ELi32ELi1EEEENSB_IJLi0ELi2ELi1EEEESF_Li1ELi4ELi2ELb0ELi0ELi1ELi2ENSB_IJLi1ELi16ELi1ELi16EEEELi4ELNS_13LoopSchedulerE1ELNS_15PipelineVersionE0EDF16_DF16_EELb1EEEvNT_8ArgumentE,"axG",@progbits,_ZN2ck27kernel_gemm_xdl_cshuffle_v1INS_43GridwiseGemm_k0mk1_k0nk1_mn_xdl_cshuffle_v1INS_13tensor_layout4gemm8RowMajorES4_S4_DF16_DF16_fDF16_DF16_NS_16tensor_operation12element_wise11PassThroughES7_S7_LNS5_6device18GemmSpecializationE0ELNS_25InMemoryDataOperationEnumE0ELi1ELi256ELi256ELi128ELi32ELi8ELi2ELi16ELi16ELi8ELi2ENS_8SequenceIJLi4ELi64ELi1EEEENSB_IJLi1ELi0ELi2EEEESD_Li2ELi8ELi8ELb0ELi1ENSB_IJLi8ELi32ELi1EEEENSB_IJLi0ELi2ELi1EEEESF_Li1ELi4ELi2ELb0ELi0ELi1ELi2ENSB_IJLi1ELi16ELi1ELi16EEEELi4ELNS_13LoopSchedulerE1ELNS_15PipelineVersionE0EDF16_DF16_EELb1EEEvNT_8ArgumentE,comdat
.Lfunc_end3:
	.size	_ZN2ck27kernel_gemm_xdl_cshuffle_v1INS_43GridwiseGemm_k0mk1_k0nk1_mn_xdl_cshuffle_v1INS_13tensor_layout4gemm8RowMajorES4_S4_DF16_DF16_fDF16_DF16_NS_16tensor_operation12element_wise11PassThroughES7_S7_LNS5_6device18GemmSpecializationE0ELNS_25InMemoryDataOperationEnumE0ELi1ELi256ELi256ELi128ELi32ELi8ELi2ELi16ELi16ELi8ELi2ENS_8SequenceIJLi4ELi64ELi1EEEENSB_IJLi1ELi0ELi2EEEESD_Li2ELi8ELi8ELb0ELi1ENSB_IJLi8ELi32ELi1EEEENSB_IJLi0ELi2ELi1EEEESF_Li1ELi4ELi2ELb0ELi0ELi1ELi2ENSB_IJLi1ELi16ELi1ELi16EEEELi4ELNS_13LoopSchedulerE1ELNS_15PipelineVersionE0EDF16_DF16_EELb1EEEvNT_8ArgumentE, .Lfunc_end3-_ZN2ck27kernel_gemm_xdl_cshuffle_v1INS_43GridwiseGemm_k0mk1_k0nk1_mn_xdl_cshuffle_v1INS_13tensor_layout4gemm8RowMajorES4_S4_DF16_DF16_fDF16_DF16_NS_16tensor_operation12element_wise11PassThroughES7_S7_LNS5_6device18GemmSpecializationE0ELNS_25InMemoryDataOperationEnumE0ELi1ELi256ELi256ELi128ELi32ELi8ELi2ELi16ELi16ELi8ELi2ENS_8SequenceIJLi4ELi64ELi1EEEENSB_IJLi1ELi0ELi2EEEESD_Li2ELi8ELi8ELb0ELi1ENSB_IJLi8ELi32ELi1EEEENSB_IJLi0ELi2ELi1EEEESF_Li1ELi4ELi2ELb0ELi0ELi1ELi2ENSB_IJLi1ELi16ELi1ELi16EEEELi4ELNS_13LoopSchedulerE1ELNS_15PipelineVersionE0EDF16_DF16_EELb1EEEvNT_8ArgumentE
                                        ; -- End function
	.section	.AMDGPU.csdata,"",@progbits
; Kernel info:
; codeLenInByte = 4
; NumSgprs: 4
; NumVgprs: 0
; NumAgprs: 0
; TotalNumVgprs: 0
; ScratchSize: 0
; MemoryBound: 0
; FloatMode: 240
; IeeeMode: 1
; LDSByteSize: 0 bytes/workgroup (compile time only)
; SGPRBlocks: 0
; VGPRBlocks: 0
; NumSGPRsForWavesPerEU: 4
; NumVGPRsForWavesPerEU: 1
; AccumOffset: 4
; Occupancy: 8
; WaveLimiterHint : 0
; COMPUTE_PGM_RSRC2:SCRATCH_EN: 0
; COMPUTE_PGM_RSRC2:USER_SGPR: 6
; COMPUTE_PGM_RSRC2:TRAP_HANDLER: 0
; COMPUTE_PGM_RSRC2:TGID_X_EN: 1
; COMPUTE_PGM_RSRC2:TGID_Y_EN: 0
; COMPUTE_PGM_RSRC2:TGID_Z_EN: 0
; COMPUTE_PGM_RSRC2:TIDIG_COMP_CNT: 0
; COMPUTE_PGM_RSRC3_GFX90A:ACCUM_OFFSET: 0
; COMPUTE_PGM_RSRC3_GFX90A:TG_SPLIT: 0
	.section	.text._ZN2ck27kernel_gemm_xdl_cshuffle_v1INS_43GridwiseGemm_k0mk1_k0nk1_mn_xdl_cshuffle_v1INS_13tensor_layout4gemm8RowMajorES4_S4_DF16_DF16_fDF16_DF16_NS_16tensor_operation12element_wise11PassThroughES7_S7_LNS5_6device18GemmSpecializationE0ELNS_25InMemoryDataOperationEnumE0ELi1ELi256ELi256ELi128ELi32ELi8ELi2ELi16ELi16ELi8ELi2ENS_8SequenceIJLi4ELi64ELi1EEEENSB_IJLi1ELi0ELi2EEEESD_Li2ELi8ELi8ELb0ELi1ENSB_IJLi8ELi32ELi1EEEENSB_IJLi0ELi2ELi1EEEESF_Li1ELi4ELi2ELb0ELi0ELi1ELi2ENSB_IJLi1ELi16ELi1ELi16EEEELi4ELNS_13LoopSchedulerE1ELNS_15PipelineVersionE0EDF16_DF16_EELb0EEEvNT_8ArgumentE,"axG",@progbits,_ZN2ck27kernel_gemm_xdl_cshuffle_v1INS_43GridwiseGemm_k0mk1_k0nk1_mn_xdl_cshuffle_v1INS_13tensor_layout4gemm8RowMajorES4_S4_DF16_DF16_fDF16_DF16_NS_16tensor_operation12element_wise11PassThroughES7_S7_LNS5_6device18GemmSpecializationE0ELNS_25InMemoryDataOperationEnumE0ELi1ELi256ELi256ELi128ELi32ELi8ELi2ELi16ELi16ELi8ELi2ENS_8SequenceIJLi4ELi64ELi1EEEENSB_IJLi1ELi0ELi2EEEESD_Li2ELi8ELi8ELb0ELi1ENSB_IJLi8ELi32ELi1EEEENSB_IJLi0ELi2ELi1EEEESF_Li1ELi4ELi2ELb0ELi0ELi1ELi2ENSB_IJLi1ELi16ELi1ELi16EEEELi4ELNS_13LoopSchedulerE1ELNS_15PipelineVersionE0EDF16_DF16_EELb0EEEvNT_8ArgumentE,comdat
	.protected	_ZN2ck27kernel_gemm_xdl_cshuffle_v1INS_43GridwiseGemm_k0mk1_k0nk1_mn_xdl_cshuffle_v1INS_13tensor_layout4gemm8RowMajorES4_S4_DF16_DF16_fDF16_DF16_NS_16tensor_operation12element_wise11PassThroughES7_S7_LNS5_6device18GemmSpecializationE0ELNS_25InMemoryDataOperationEnumE0ELi1ELi256ELi256ELi128ELi32ELi8ELi2ELi16ELi16ELi8ELi2ENS_8SequenceIJLi4ELi64ELi1EEEENSB_IJLi1ELi0ELi2EEEESD_Li2ELi8ELi8ELb0ELi1ENSB_IJLi8ELi32ELi1EEEENSB_IJLi0ELi2ELi1EEEESF_Li1ELi4ELi2ELb0ELi0ELi1ELi2ENSB_IJLi1ELi16ELi1ELi16EEEELi4ELNS_13LoopSchedulerE1ELNS_15PipelineVersionE0EDF16_DF16_EELb0EEEvNT_8ArgumentE ; -- Begin function _ZN2ck27kernel_gemm_xdl_cshuffle_v1INS_43GridwiseGemm_k0mk1_k0nk1_mn_xdl_cshuffle_v1INS_13tensor_layout4gemm8RowMajorES4_S4_DF16_DF16_fDF16_DF16_NS_16tensor_operation12element_wise11PassThroughES7_S7_LNS5_6device18GemmSpecializationE0ELNS_25InMemoryDataOperationEnumE0ELi1ELi256ELi256ELi128ELi32ELi8ELi2ELi16ELi16ELi8ELi2ENS_8SequenceIJLi4ELi64ELi1EEEENSB_IJLi1ELi0ELi2EEEESD_Li2ELi8ELi8ELb0ELi1ENSB_IJLi8ELi32ELi1EEEENSB_IJLi0ELi2ELi1EEEESF_Li1ELi4ELi2ELb0ELi0ELi1ELi2ENSB_IJLi1ELi16ELi1ELi16EEEELi4ELNS_13LoopSchedulerE1ELNS_15PipelineVersionE0EDF16_DF16_EELb0EEEvNT_8ArgumentE
	.globl	_ZN2ck27kernel_gemm_xdl_cshuffle_v1INS_43GridwiseGemm_k0mk1_k0nk1_mn_xdl_cshuffle_v1INS_13tensor_layout4gemm8RowMajorES4_S4_DF16_DF16_fDF16_DF16_NS_16tensor_operation12element_wise11PassThroughES7_S7_LNS5_6device18GemmSpecializationE0ELNS_25InMemoryDataOperationEnumE0ELi1ELi256ELi256ELi128ELi32ELi8ELi2ELi16ELi16ELi8ELi2ENS_8SequenceIJLi4ELi64ELi1EEEENSB_IJLi1ELi0ELi2EEEESD_Li2ELi8ELi8ELb0ELi1ENSB_IJLi8ELi32ELi1EEEENSB_IJLi0ELi2ELi1EEEESF_Li1ELi4ELi2ELb0ELi0ELi1ELi2ENSB_IJLi1ELi16ELi1ELi16EEEELi4ELNS_13LoopSchedulerE1ELNS_15PipelineVersionE0EDF16_DF16_EELb0EEEvNT_8ArgumentE
	.p2align	8
	.type	_ZN2ck27kernel_gemm_xdl_cshuffle_v1INS_43GridwiseGemm_k0mk1_k0nk1_mn_xdl_cshuffle_v1INS_13tensor_layout4gemm8RowMajorES4_S4_DF16_DF16_fDF16_DF16_NS_16tensor_operation12element_wise11PassThroughES7_S7_LNS5_6device18GemmSpecializationE0ELNS_25InMemoryDataOperationEnumE0ELi1ELi256ELi256ELi128ELi32ELi8ELi2ELi16ELi16ELi8ELi2ENS_8SequenceIJLi4ELi64ELi1EEEENSB_IJLi1ELi0ELi2EEEESD_Li2ELi8ELi8ELb0ELi1ENSB_IJLi8ELi32ELi1EEEENSB_IJLi0ELi2ELi1EEEESF_Li1ELi4ELi2ELb0ELi0ELi1ELi2ENSB_IJLi1ELi16ELi1ELi16EEEELi4ELNS_13LoopSchedulerE1ELNS_15PipelineVersionE0EDF16_DF16_EELb0EEEvNT_8ArgumentE,@function
_ZN2ck27kernel_gemm_xdl_cshuffle_v1INS_43GridwiseGemm_k0mk1_k0nk1_mn_xdl_cshuffle_v1INS_13tensor_layout4gemm8RowMajorES4_S4_DF16_DF16_fDF16_DF16_NS_16tensor_operation12element_wise11PassThroughES7_S7_LNS5_6device18GemmSpecializationE0ELNS_25InMemoryDataOperationEnumE0ELi1ELi256ELi256ELi128ELi32ELi8ELi2ELi16ELi16ELi8ELi2ENS_8SequenceIJLi4ELi64ELi1EEEENSB_IJLi1ELi0ELi2EEEESD_Li2ELi8ELi8ELb0ELi1ENSB_IJLi8ELi32ELi1EEEENSB_IJLi0ELi2ELi1EEEESF_Li1ELi4ELi2ELb0ELi0ELi1ELi2ENSB_IJLi1ELi16ELi1ELi16EEEELi4ELNS_13LoopSchedulerE1ELNS_15PipelineVersionE0EDF16_DF16_EELb0EEEvNT_8ArgumentE: ; @_ZN2ck27kernel_gemm_xdl_cshuffle_v1INS_43GridwiseGemm_k0mk1_k0nk1_mn_xdl_cshuffle_v1INS_13tensor_layout4gemm8RowMajorES4_S4_DF16_DF16_fDF16_DF16_NS_16tensor_operation12element_wise11PassThroughES7_S7_LNS5_6device18GemmSpecializationE0ELNS_25InMemoryDataOperationEnumE0ELi1ELi256ELi256ELi128ELi32ELi8ELi2ELi16ELi16ELi8ELi2ENS_8SequenceIJLi4ELi64ELi1EEEENSB_IJLi1ELi0ELi2EEEESD_Li2ELi8ELi8ELb0ELi1ENSB_IJLi8ELi32ELi1EEEENSB_IJLi0ELi2ELi1EEEESF_Li1ELi4ELi2ELb0ELi0ELi1ELi2ENSB_IJLi1ELi16ELi1ELi16EEEELi4ELNS_13LoopSchedulerE1ELNS_15PipelineVersionE0EDF16_DF16_EELb0EEEvNT_8ArgumentE
; %bb.0:
	s_endpgm
	.section	.rodata,"a",@progbits
	.p2align	6, 0x0
	.amdhsa_kernel _ZN2ck27kernel_gemm_xdl_cshuffle_v1INS_43GridwiseGemm_k0mk1_k0nk1_mn_xdl_cshuffle_v1INS_13tensor_layout4gemm8RowMajorES4_S4_DF16_DF16_fDF16_DF16_NS_16tensor_operation12element_wise11PassThroughES7_S7_LNS5_6device18GemmSpecializationE0ELNS_25InMemoryDataOperationEnumE0ELi1ELi256ELi256ELi128ELi32ELi8ELi2ELi16ELi16ELi8ELi2ENS_8SequenceIJLi4ELi64ELi1EEEENSB_IJLi1ELi0ELi2EEEESD_Li2ELi8ELi8ELb0ELi1ENSB_IJLi8ELi32ELi1EEEENSB_IJLi0ELi2ELi1EEEESF_Li1ELi4ELi2ELb0ELi0ELi1ELi2ENSB_IJLi1ELi16ELi1ELi16EEEELi4ELNS_13LoopSchedulerE1ELNS_15PipelineVersionE0EDF16_DF16_EELb0EEEvNT_8ArgumentE
		.amdhsa_group_segment_fixed_size 0
		.amdhsa_private_segment_fixed_size 0
		.amdhsa_kernarg_size 96
		.amdhsa_user_sgpr_count 6
		.amdhsa_user_sgpr_private_segment_buffer 1
		.amdhsa_user_sgpr_dispatch_ptr 0
		.amdhsa_user_sgpr_queue_ptr 0
		.amdhsa_user_sgpr_kernarg_segment_ptr 1
		.amdhsa_user_sgpr_dispatch_id 0
		.amdhsa_user_sgpr_flat_scratch_init 0
		.amdhsa_user_sgpr_kernarg_preload_length 0
		.amdhsa_user_sgpr_kernarg_preload_offset 0
		.amdhsa_user_sgpr_private_segment_size 0
		.amdhsa_uses_dynamic_stack 0
		.amdhsa_system_sgpr_private_segment_wavefront_offset 0
		.amdhsa_system_sgpr_workgroup_id_x 1
		.amdhsa_system_sgpr_workgroup_id_y 0
		.amdhsa_system_sgpr_workgroup_id_z 0
		.amdhsa_system_sgpr_workgroup_info 0
		.amdhsa_system_vgpr_workitem_id 0
		.amdhsa_next_free_vgpr 1
		.amdhsa_next_free_sgpr 0
		.amdhsa_accum_offset 4
		.amdhsa_reserve_vcc 0
		.amdhsa_reserve_flat_scratch 0
		.amdhsa_float_round_mode_32 0
		.amdhsa_float_round_mode_16_64 0
		.amdhsa_float_denorm_mode_32 3
		.amdhsa_float_denorm_mode_16_64 3
		.amdhsa_dx10_clamp 1
		.amdhsa_ieee_mode 1
		.amdhsa_fp16_overflow 0
		.amdhsa_tg_split 0
		.amdhsa_exception_fp_ieee_invalid_op 0
		.amdhsa_exception_fp_denorm_src 0
		.amdhsa_exception_fp_ieee_div_zero 0
		.amdhsa_exception_fp_ieee_overflow 0
		.amdhsa_exception_fp_ieee_underflow 0
		.amdhsa_exception_fp_ieee_inexact 0
		.amdhsa_exception_int_div_zero 0
	.end_amdhsa_kernel
	.section	.text._ZN2ck27kernel_gemm_xdl_cshuffle_v1INS_43GridwiseGemm_k0mk1_k0nk1_mn_xdl_cshuffle_v1INS_13tensor_layout4gemm8RowMajorES4_S4_DF16_DF16_fDF16_DF16_NS_16tensor_operation12element_wise11PassThroughES7_S7_LNS5_6device18GemmSpecializationE0ELNS_25InMemoryDataOperationEnumE0ELi1ELi256ELi256ELi128ELi32ELi8ELi2ELi16ELi16ELi8ELi2ENS_8SequenceIJLi4ELi64ELi1EEEENSB_IJLi1ELi0ELi2EEEESD_Li2ELi8ELi8ELb0ELi1ENSB_IJLi8ELi32ELi1EEEENSB_IJLi0ELi2ELi1EEEESF_Li1ELi4ELi2ELb0ELi0ELi1ELi2ENSB_IJLi1ELi16ELi1ELi16EEEELi4ELNS_13LoopSchedulerE1ELNS_15PipelineVersionE0EDF16_DF16_EELb0EEEvNT_8ArgumentE,"axG",@progbits,_ZN2ck27kernel_gemm_xdl_cshuffle_v1INS_43GridwiseGemm_k0mk1_k0nk1_mn_xdl_cshuffle_v1INS_13tensor_layout4gemm8RowMajorES4_S4_DF16_DF16_fDF16_DF16_NS_16tensor_operation12element_wise11PassThroughES7_S7_LNS5_6device18GemmSpecializationE0ELNS_25InMemoryDataOperationEnumE0ELi1ELi256ELi256ELi128ELi32ELi8ELi2ELi16ELi16ELi8ELi2ENS_8SequenceIJLi4ELi64ELi1EEEENSB_IJLi1ELi0ELi2EEEESD_Li2ELi8ELi8ELb0ELi1ENSB_IJLi8ELi32ELi1EEEENSB_IJLi0ELi2ELi1EEEESF_Li1ELi4ELi2ELb0ELi0ELi1ELi2ENSB_IJLi1ELi16ELi1ELi16EEEELi4ELNS_13LoopSchedulerE1ELNS_15PipelineVersionE0EDF16_DF16_EELb0EEEvNT_8ArgumentE,comdat
.Lfunc_end4:
	.size	_ZN2ck27kernel_gemm_xdl_cshuffle_v1INS_43GridwiseGemm_k0mk1_k0nk1_mn_xdl_cshuffle_v1INS_13tensor_layout4gemm8RowMajorES4_S4_DF16_DF16_fDF16_DF16_NS_16tensor_operation12element_wise11PassThroughES7_S7_LNS5_6device18GemmSpecializationE0ELNS_25InMemoryDataOperationEnumE0ELi1ELi256ELi256ELi128ELi32ELi8ELi2ELi16ELi16ELi8ELi2ENS_8SequenceIJLi4ELi64ELi1EEEENSB_IJLi1ELi0ELi2EEEESD_Li2ELi8ELi8ELb0ELi1ENSB_IJLi8ELi32ELi1EEEENSB_IJLi0ELi2ELi1EEEESF_Li1ELi4ELi2ELb0ELi0ELi1ELi2ENSB_IJLi1ELi16ELi1ELi16EEEELi4ELNS_13LoopSchedulerE1ELNS_15PipelineVersionE0EDF16_DF16_EELb0EEEvNT_8ArgumentE, .Lfunc_end4-_ZN2ck27kernel_gemm_xdl_cshuffle_v1INS_43GridwiseGemm_k0mk1_k0nk1_mn_xdl_cshuffle_v1INS_13tensor_layout4gemm8RowMajorES4_S4_DF16_DF16_fDF16_DF16_NS_16tensor_operation12element_wise11PassThroughES7_S7_LNS5_6device18GemmSpecializationE0ELNS_25InMemoryDataOperationEnumE0ELi1ELi256ELi256ELi128ELi32ELi8ELi2ELi16ELi16ELi8ELi2ENS_8SequenceIJLi4ELi64ELi1EEEENSB_IJLi1ELi0ELi2EEEESD_Li2ELi8ELi8ELb0ELi1ENSB_IJLi8ELi32ELi1EEEENSB_IJLi0ELi2ELi1EEEESF_Li1ELi4ELi2ELb0ELi0ELi1ELi2ENSB_IJLi1ELi16ELi1ELi16EEEELi4ELNS_13LoopSchedulerE1ELNS_15PipelineVersionE0EDF16_DF16_EELb0EEEvNT_8ArgumentE
                                        ; -- End function
	.section	.AMDGPU.csdata,"",@progbits
; Kernel info:
; codeLenInByte = 4
; NumSgprs: 4
; NumVgprs: 0
; NumAgprs: 0
; TotalNumVgprs: 0
; ScratchSize: 0
; MemoryBound: 0
; FloatMode: 240
; IeeeMode: 1
; LDSByteSize: 0 bytes/workgroup (compile time only)
; SGPRBlocks: 0
; VGPRBlocks: 0
; NumSGPRsForWavesPerEU: 4
; NumVGPRsForWavesPerEU: 1
; AccumOffset: 4
; Occupancy: 8
; WaveLimiterHint : 0
; COMPUTE_PGM_RSRC2:SCRATCH_EN: 0
; COMPUTE_PGM_RSRC2:USER_SGPR: 6
; COMPUTE_PGM_RSRC2:TRAP_HANDLER: 0
; COMPUTE_PGM_RSRC2:TGID_X_EN: 1
; COMPUTE_PGM_RSRC2:TGID_Y_EN: 0
; COMPUTE_PGM_RSRC2:TGID_Z_EN: 0
; COMPUTE_PGM_RSRC2:TIDIG_COMP_CNT: 0
; COMPUTE_PGM_RSRC3_GFX90A:ACCUM_OFFSET: 0
; COMPUTE_PGM_RSRC3_GFX90A:TG_SPLIT: 0
	.section	.text._ZN2ck17naive_gemm_kernelINS_13tensor_layout4gemm8RowMajorES3_S3_DF16_DF16_DF16_fNS_16tensor_operation12element_wise11PassThroughES6_S6_DF16_DF16_EEvPKT2_PKT3_PT4_iiiT6_T7_T8_,"axG",@progbits,_ZN2ck17naive_gemm_kernelINS_13tensor_layout4gemm8RowMajorES3_S3_DF16_DF16_DF16_fNS_16tensor_operation12element_wise11PassThroughES6_S6_DF16_DF16_EEvPKT2_PKT3_PT4_iiiT6_T7_T8_,comdat
	.protected	_ZN2ck17naive_gemm_kernelINS_13tensor_layout4gemm8RowMajorES3_S3_DF16_DF16_DF16_fNS_16tensor_operation12element_wise11PassThroughES6_S6_DF16_DF16_EEvPKT2_PKT3_PT4_iiiT6_T7_T8_ ; -- Begin function _ZN2ck17naive_gemm_kernelINS_13tensor_layout4gemm8RowMajorES3_S3_DF16_DF16_DF16_fNS_16tensor_operation12element_wise11PassThroughES6_S6_DF16_DF16_EEvPKT2_PKT3_PT4_iiiT6_T7_T8_
	.globl	_ZN2ck17naive_gemm_kernelINS_13tensor_layout4gemm8RowMajorES3_S3_DF16_DF16_DF16_fNS_16tensor_operation12element_wise11PassThroughES6_S6_DF16_DF16_EEvPKT2_PKT3_PT4_iiiT6_T7_T8_
	.p2align	8
	.type	_ZN2ck17naive_gemm_kernelINS_13tensor_layout4gemm8RowMajorES3_S3_DF16_DF16_DF16_fNS_16tensor_operation12element_wise11PassThroughES6_S6_DF16_DF16_EEvPKT2_PKT3_PT4_iiiT6_T7_T8_,@function
_ZN2ck17naive_gemm_kernelINS_13tensor_layout4gemm8RowMajorES3_S3_DF16_DF16_DF16_fNS_16tensor_operation12element_wise11PassThroughES6_S6_DF16_DF16_EEvPKT2_PKT3_PT4_iiiT6_T7_T8_: ; @_ZN2ck17naive_gemm_kernelINS_13tensor_layout4gemm8RowMajorES3_S3_DF16_DF16_DF16_fNS_16tensor_operation12element_wise11PassThroughES6_S6_DF16_DF16_EEvPKT2_PKT3_PT4_iiiT6_T7_T8_
; %bb.0:
	s_load_dword s0, s[4:5], 0x34
	s_load_dwordx4 s[8:11], s[4:5], 0x18
	v_and_b32_e32 v1, 0x3ff, v0
	v_bfe_u32 v0, v0, 10, 10
	s_waitcnt lgkmcnt(0)
	s_lshr_b32 s1, s0, 16
	s_and_b32 s0, s0, 0xffff
	s_mul_i32 s6, s6, s0
	s_mul_i32 s7, s7, s1
	v_add_u32_e32 v1, s6, v1
	v_add_u32_e32 v0, s7, v0
	v_cmp_gt_i32_e32 vcc, s8, v1
	v_cmp_gt_i32_e64 s[0:1], s9, v0
	s_and_b64 s[0:1], vcc, s[0:1]
	s_and_saveexec_b64 s[2:3], s[0:1]
	s_cbranch_execz .LBB5_7
; %bb.1:
	s_load_dwordx2 s[6:7], s[4:5], 0x10
	s_cmp_lt_i32 s10, 1
	s_cbranch_scc1 .LBB5_5
; %bb.2:
	s_load_dwordx4 s[0:3], s[4:5], 0x0
	v_mul_lo_u32 v2, v1, s10
	v_ashrrev_i32_e32 v3, 31, v2
	v_lshlrev_b64 v[2:3], 1, v[2:3]
	v_mov_b32_e32 v6, 0
	s_waitcnt lgkmcnt(0)
	v_mov_b32_e32 v4, s1
	v_add_co_u32_e32 v2, vcc, s0, v2
	v_addc_co_u32_e32 v3, vcc, v4, v3, vcc
	v_mov_b32_e32 v7, s3
	v_mov_b32_e32 v4, v0
.LBB5_3:                                ; =>This Inner Loop Header: Depth=1
	v_ashrrev_i32_e32 v5, 31, v4
	v_lshlrev_b64 v[8:9], 1, v[4:5]
	v_add_co_u32_e32 v8, vcc, s2, v8
	v_addc_co_u32_e32 v9, vcc, v7, v9, vcc
	global_load_ushort v10, v[2:3], off
	global_load_ushort v5, v[8:9], off
	s_add_i32 s10, s10, -1
	v_add_co_u32_e32 v2, vcc, 2, v2
	v_addc_co_u32_e32 v3, vcc, 0, v3, vcc
	v_add_u32_e32 v4, s9, v4
	s_cmp_eq_u32 s10, 0
	s_waitcnt vmcnt(0)
	v_fma_mix_f32 v6, v10, v5, v6 op_sel_hi:[1,1,0]
	s_cbranch_scc0 .LBB5_3
; %bb.4:
	v_cvt_f16_f32_e32 v2, v6
	s_branch .LBB5_6
.LBB5_5:
	v_mov_b32_e32 v2, 0
.LBB5_6:
	v_mad_u64_u32 v[0:1], s[0:1], v1, s9, v[0:1]
	v_ashrrev_i32_e32 v1, 31, v0
	v_lshlrev_b64 v[0:1], 1, v[0:1]
	s_waitcnt lgkmcnt(0)
	v_mov_b32_e32 v3, s7
	v_add_co_u32_e32 v0, vcc, s6, v0
	v_addc_co_u32_e32 v1, vcc, v3, v1, vcc
	global_store_short v[0:1], v2, off
.LBB5_7:
	s_endpgm
	.section	.rodata,"a",@progbits
	.p2align	6, 0x0
	.amdhsa_kernel _ZN2ck17naive_gemm_kernelINS_13tensor_layout4gemm8RowMajorES3_S3_DF16_DF16_DF16_fNS_16tensor_operation12element_wise11PassThroughES6_S6_DF16_DF16_EEvPKT2_PKT3_PT4_iiiT6_T7_T8_
		.amdhsa_group_segment_fixed_size 0
		.amdhsa_private_segment_fixed_size 0
		.amdhsa_kernarg_size 296
		.amdhsa_user_sgpr_count 6
		.amdhsa_user_sgpr_private_segment_buffer 1
		.amdhsa_user_sgpr_dispatch_ptr 0
		.amdhsa_user_sgpr_queue_ptr 0
		.amdhsa_user_sgpr_kernarg_segment_ptr 1
		.amdhsa_user_sgpr_dispatch_id 0
		.amdhsa_user_sgpr_flat_scratch_init 0
		.amdhsa_user_sgpr_kernarg_preload_length 0
		.amdhsa_user_sgpr_kernarg_preload_offset 0
		.amdhsa_user_sgpr_private_segment_size 0
		.amdhsa_uses_dynamic_stack 0
		.amdhsa_system_sgpr_private_segment_wavefront_offset 0
		.amdhsa_system_sgpr_workgroup_id_x 1
		.amdhsa_system_sgpr_workgroup_id_y 1
		.amdhsa_system_sgpr_workgroup_id_z 0
		.amdhsa_system_sgpr_workgroup_info 0
		.amdhsa_system_vgpr_workitem_id 1
		.amdhsa_next_free_vgpr 11
		.amdhsa_next_free_sgpr 12
		.amdhsa_accum_offset 12
		.amdhsa_reserve_vcc 1
		.amdhsa_reserve_flat_scratch 0
		.amdhsa_float_round_mode_32 0
		.amdhsa_float_round_mode_16_64 0
		.amdhsa_float_denorm_mode_32 3
		.amdhsa_float_denorm_mode_16_64 3
		.amdhsa_dx10_clamp 1
		.amdhsa_ieee_mode 1
		.amdhsa_fp16_overflow 0
		.amdhsa_tg_split 0
		.amdhsa_exception_fp_ieee_invalid_op 0
		.amdhsa_exception_fp_denorm_src 0
		.amdhsa_exception_fp_ieee_div_zero 0
		.amdhsa_exception_fp_ieee_overflow 0
		.amdhsa_exception_fp_ieee_underflow 0
		.amdhsa_exception_fp_ieee_inexact 0
		.amdhsa_exception_int_div_zero 0
	.end_amdhsa_kernel
	.section	.text._ZN2ck17naive_gemm_kernelINS_13tensor_layout4gemm8RowMajorES3_S3_DF16_DF16_DF16_fNS_16tensor_operation12element_wise11PassThroughES6_S6_DF16_DF16_EEvPKT2_PKT3_PT4_iiiT6_T7_T8_,"axG",@progbits,_ZN2ck17naive_gemm_kernelINS_13tensor_layout4gemm8RowMajorES3_S3_DF16_DF16_DF16_fNS_16tensor_operation12element_wise11PassThroughES6_S6_DF16_DF16_EEvPKT2_PKT3_PT4_iiiT6_T7_T8_,comdat
.Lfunc_end5:
	.size	_ZN2ck17naive_gemm_kernelINS_13tensor_layout4gemm8RowMajorES3_S3_DF16_DF16_DF16_fNS_16tensor_operation12element_wise11PassThroughES6_S6_DF16_DF16_EEvPKT2_PKT3_PT4_iiiT6_T7_T8_, .Lfunc_end5-_ZN2ck17naive_gemm_kernelINS_13tensor_layout4gemm8RowMajorES3_S3_DF16_DF16_DF16_fNS_16tensor_operation12element_wise11PassThroughES6_S6_DF16_DF16_EEvPKT2_PKT3_PT4_iiiT6_T7_T8_
                                        ; -- End function
	.section	.AMDGPU.csdata,"",@progbits
; Kernel info:
; codeLenInByte = 292
; NumSgprs: 16
; NumVgprs: 11
; NumAgprs: 0
; TotalNumVgprs: 11
; ScratchSize: 0
; MemoryBound: 0
; FloatMode: 240
; IeeeMode: 1
; LDSByteSize: 0 bytes/workgroup (compile time only)
; SGPRBlocks: 1
; VGPRBlocks: 1
; NumSGPRsForWavesPerEU: 16
; NumVGPRsForWavesPerEU: 11
; AccumOffset: 12
; Occupancy: 8
; WaveLimiterHint : 0
; COMPUTE_PGM_RSRC2:SCRATCH_EN: 0
; COMPUTE_PGM_RSRC2:USER_SGPR: 6
; COMPUTE_PGM_RSRC2:TRAP_HANDLER: 0
; COMPUTE_PGM_RSRC2:TGID_X_EN: 1
; COMPUTE_PGM_RSRC2:TGID_Y_EN: 1
; COMPUTE_PGM_RSRC2:TGID_Z_EN: 0
; COMPUTE_PGM_RSRC2:TIDIG_COMP_CNT: 1
; COMPUTE_PGM_RSRC3_GFX90A:ACCUM_OFFSET: 2
; COMPUTE_PGM_RSRC3_GFX90A:TG_SPLIT: 0
	.text
	.p2alignl 6, 3212836864
	.fill 256, 4, 3212836864
	.type	__hip_cuid_96e1f8f46e363158,@object ; @__hip_cuid_96e1f8f46e363158
	.section	.bss,"aw",@nobits
	.globl	__hip_cuid_96e1f8f46e363158
__hip_cuid_96e1f8f46e363158:
	.byte	0                               ; 0x0
	.size	__hip_cuid_96e1f8f46e363158, 1

	.ident	"AMD clang version 19.0.0git (https://github.com/RadeonOpenCompute/llvm-project roc-6.4.0 25133 c7fe45cf4b819c5991fe208aaa96edf142730f1d)"
	.section	".note.GNU-stack","",@progbits
	.addrsig
	.addrsig_sym __hip_cuid_96e1f8f46e363158
	.amdgpu_metadata
---
amdhsa.kernels:
  - .agpr_count:     0
    .args:           []
    .group_segment_fixed_size: 0
    .kernarg_segment_align: 4
    .kernarg_segment_size: 0
    .language:       OpenCL C
    .language_version:
      - 2
      - 0
    .max_flat_workgroup_size: 1024
    .name:           _ZN2ckL12flush_icacheEv
    .private_segment_fixed_size: 0
    .sgpr_count:     4
    .sgpr_spill_count: 0
    .symbol:         _ZN2ckL12flush_icacheEv.kd
    .uniform_work_group_size: 1
    .uses_dynamic_stack: false
    .vgpr_count:     0
    .vgpr_spill_count: 0
    .wavefront_size: 64
  - .agpr_count:     0
    .args:
      - .offset:         0
        .size:           96
        .value_kind:     by_value
    .group_segment_fixed_size: 24624
    .kernarg_segment_align: 8
    .kernarg_segment_size: 96
    .language:       OpenCL C
    .language_version:
      - 2
      - 0
    .max_flat_workgroup_size: 256
    .name:           _ZN2ck27kernel_gemm_xdl_cshuffle_v1INS_43GridwiseGemm_k0mk1_k0nk1_mn_xdl_cshuffle_v1INS_13tensor_layout4gemm8RowMajorES4_S4_DF16_DF16_fDF16_DF16_NS_16tensor_operation12element_wise11PassThroughES7_S7_LNS5_6device18GemmSpecializationE0ELNS_25InMemoryDataOperationEnumE0ELi1ELi256ELi256ELi128ELi32ELi8ELi2ELi16ELi16ELi8ELi4ENS_8SequenceIJLi4ELi64ELi1EEEENSB_IJLi1ELi0ELi2EEEESD_Li2ELi8ELi8ELb0ELi1ENSB_IJLi8ELi32ELi1EEEENSB_IJLi0ELi2ELi1EEEESF_Li1ELi4ELi2ELb0ELi0ELi1ELi2ENSB_IJLi1ELi16ELi1ELi16EEEELi4ELNS_13LoopSchedulerE1ELNS_15PipelineVersionE0EDF16_DF16_EELb1EEEvNT_8ArgumentE
    .private_segment_fixed_size: 0
    .sgpr_count:     32
    .sgpr_spill_count: 0
    .symbol:         _ZN2ck27kernel_gemm_xdl_cshuffle_v1INS_43GridwiseGemm_k0mk1_k0nk1_mn_xdl_cshuffle_v1INS_13tensor_layout4gemm8RowMajorES4_S4_DF16_DF16_fDF16_DF16_NS_16tensor_operation12element_wise11PassThroughES7_S7_LNS5_6device18GemmSpecializationE0ELNS_25InMemoryDataOperationEnumE0ELi1ELi256ELi256ELi128ELi32ELi8ELi2ELi16ELi16ELi8ELi4ENS_8SequenceIJLi4ELi64ELi1EEEENSB_IJLi1ELi0ELi2EEEESD_Li2ELi8ELi8ELb0ELi1ENSB_IJLi8ELi32ELi1EEEENSB_IJLi0ELi2ELi1EEEESF_Li1ELi4ELi2ELb0ELi0ELi1ELi2ENSB_IJLi1ELi16ELi1ELi16EEEELi4ELNS_13LoopSchedulerE1ELNS_15PipelineVersionE0EDF16_DF16_EELb1EEEvNT_8ArgumentE.kd
    .uniform_work_group_size: 1
    .uses_dynamic_stack: false
    .vgpr_count:     218
    .vgpr_spill_count: 0
    .wavefront_size: 64
  - .agpr_count:     0
    .args:
      - .offset:         0
        .size:           96
        .value_kind:     by_value
    .group_segment_fixed_size: 24624
    .kernarg_segment_align: 8
    .kernarg_segment_size: 96
    .language:       OpenCL C
    .language_version:
      - 2
      - 0
    .max_flat_workgroup_size: 256
    .name:           _ZN2ck27kernel_gemm_xdl_cshuffle_v1INS_43GridwiseGemm_k0mk1_k0nk1_mn_xdl_cshuffle_v1INS_13tensor_layout4gemm8RowMajorES4_S4_DF16_DF16_fDF16_DF16_NS_16tensor_operation12element_wise11PassThroughES7_S7_LNS5_6device18GemmSpecializationE0ELNS_25InMemoryDataOperationEnumE0ELi1ELi256ELi256ELi128ELi32ELi8ELi2ELi16ELi16ELi8ELi4ENS_8SequenceIJLi4ELi64ELi1EEEENSB_IJLi1ELi0ELi2EEEESD_Li2ELi8ELi8ELb0ELi1ENSB_IJLi8ELi32ELi1EEEENSB_IJLi0ELi2ELi1EEEESF_Li1ELi4ELi2ELb0ELi0ELi1ELi2ENSB_IJLi1ELi16ELi1ELi16EEEELi4ELNS_13LoopSchedulerE1ELNS_15PipelineVersionE0EDF16_DF16_EELb0EEEvNT_8ArgumentE
    .private_segment_fixed_size: 0
    .sgpr_count:     28
    .sgpr_spill_count: 0
    .symbol:         _ZN2ck27kernel_gemm_xdl_cshuffle_v1INS_43GridwiseGemm_k0mk1_k0nk1_mn_xdl_cshuffle_v1INS_13tensor_layout4gemm8RowMajorES4_S4_DF16_DF16_fDF16_DF16_NS_16tensor_operation12element_wise11PassThroughES7_S7_LNS5_6device18GemmSpecializationE0ELNS_25InMemoryDataOperationEnumE0ELi1ELi256ELi256ELi128ELi32ELi8ELi2ELi16ELi16ELi8ELi4ENS_8SequenceIJLi4ELi64ELi1EEEENSB_IJLi1ELi0ELi2EEEESD_Li2ELi8ELi8ELb0ELi1ENSB_IJLi8ELi32ELi1EEEENSB_IJLi0ELi2ELi1EEEESF_Li1ELi4ELi2ELb0ELi0ELi1ELi2ENSB_IJLi1ELi16ELi1ELi16EEEELi4ELNS_13LoopSchedulerE1ELNS_15PipelineVersionE0EDF16_DF16_EELb0EEEvNT_8ArgumentE.kd
    .uniform_work_group_size: 1
    .uses_dynamic_stack: false
    .vgpr_count:     155
    .vgpr_spill_count: 0
    .wavefront_size: 64
  - .agpr_count:     0
    .args:
      - .offset:         0
        .size:           96
        .value_kind:     by_value
    .group_segment_fixed_size: 0
    .kernarg_segment_align: 8
    .kernarg_segment_size: 96
    .language:       OpenCL C
    .language_version:
      - 2
      - 0
    .max_flat_workgroup_size: 256
    .name:           _ZN2ck27kernel_gemm_xdl_cshuffle_v1INS_43GridwiseGemm_k0mk1_k0nk1_mn_xdl_cshuffle_v1INS_13tensor_layout4gemm8RowMajorES4_S4_DF16_DF16_fDF16_DF16_NS_16tensor_operation12element_wise11PassThroughES7_S7_LNS5_6device18GemmSpecializationE0ELNS_25InMemoryDataOperationEnumE0ELi1ELi256ELi256ELi128ELi32ELi8ELi2ELi16ELi16ELi8ELi2ENS_8SequenceIJLi4ELi64ELi1EEEENSB_IJLi1ELi0ELi2EEEESD_Li2ELi8ELi8ELb0ELi1ENSB_IJLi8ELi32ELi1EEEENSB_IJLi0ELi2ELi1EEEESF_Li1ELi4ELi2ELb0ELi0ELi1ELi2ENSB_IJLi1ELi16ELi1ELi16EEEELi4ELNS_13LoopSchedulerE1ELNS_15PipelineVersionE0EDF16_DF16_EELb1EEEvNT_8ArgumentE
    .private_segment_fixed_size: 0
    .sgpr_count:     4
    .sgpr_spill_count: 0
    .symbol:         _ZN2ck27kernel_gemm_xdl_cshuffle_v1INS_43GridwiseGemm_k0mk1_k0nk1_mn_xdl_cshuffle_v1INS_13tensor_layout4gemm8RowMajorES4_S4_DF16_DF16_fDF16_DF16_NS_16tensor_operation12element_wise11PassThroughES7_S7_LNS5_6device18GemmSpecializationE0ELNS_25InMemoryDataOperationEnumE0ELi1ELi256ELi256ELi128ELi32ELi8ELi2ELi16ELi16ELi8ELi2ENS_8SequenceIJLi4ELi64ELi1EEEENSB_IJLi1ELi0ELi2EEEESD_Li2ELi8ELi8ELb0ELi1ENSB_IJLi8ELi32ELi1EEEENSB_IJLi0ELi2ELi1EEEESF_Li1ELi4ELi2ELb0ELi0ELi1ELi2ENSB_IJLi1ELi16ELi1ELi16EEEELi4ELNS_13LoopSchedulerE1ELNS_15PipelineVersionE0EDF16_DF16_EELb1EEEvNT_8ArgumentE.kd
    .uniform_work_group_size: 1
    .uses_dynamic_stack: false
    .vgpr_count:     0
    .vgpr_spill_count: 0
    .wavefront_size: 64
  - .agpr_count:     0
    .args:
      - .offset:         0
        .size:           96
        .value_kind:     by_value
    .group_segment_fixed_size: 0
    .kernarg_segment_align: 8
    .kernarg_segment_size: 96
    .language:       OpenCL C
    .language_version:
      - 2
      - 0
    .max_flat_workgroup_size: 256
    .name:           _ZN2ck27kernel_gemm_xdl_cshuffle_v1INS_43GridwiseGemm_k0mk1_k0nk1_mn_xdl_cshuffle_v1INS_13tensor_layout4gemm8RowMajorES4_S4_DF16_DF16_fDF16_DF16_NS_16tensor_operation12element_wise11PassThroughES7_S7_LNS5_6device18GemmSpecializationE0ELNS_25InMemoryDataOperationEnumE0ELi1ELi256ELi256ELi128ELi32ELi8ELi2ELi16ELi16ELi8ELi2ENS_8SequenceIJLi4ELi64ELi1EEEENSB_IJLi1ELi0ELi2EEEESD_Li2ELi8ELi8ELb0ELi1ENSB_IJLi8ELi32ELi1EEEENSB_IJLi0ELi2ELi1EEEESF_Li1ELi4ELi2ELb0ELi0ELi1ELi2ENSB_IJLi1ELi16ELi1ELi16EEEELi4ELNS_13LoopSchedulerE1ELNS_15PipelineVersionE0EDF16_DF16_EELb0EEEvNT_8ArgumentE
    .private_segment_fixed_size: 0
    .sgpr_count:     4
    .sgpr_spill_count: 0
    .symbol:         _ZN2ck27kernel_gemm_xdl_cshuffle_v1INS_43GridwiseGemm_k0mk1_k0nk1_mn_xdl_cshuffle_v1INS_13tensor_layout4gemm8RowMajorES4_S4_DF16_DF16_fDF16_DF16_NS_16tensor_operation12element_wise11PassThroughES7_S7_LNS5_6device18GemmSpecializationE0ELNS_25InMemoryDataOperationEnumE0ELi1ELi256ELi256ELi128ELi32ELi8ELi2ELi16ELi16ELi8ELi2ENS_8SequenceIJLi4ELi64ELi1EEEENSB_IJLi1ELi0ELi2EEEESD_Li2ELi8ELi8ELb0ELi1ENSB_IJLi8ELi32ELi1EEEENSB_IJLi0ELi2ELi1EEEESF_Li1ELi4ELi2ELb0ELi0ELi1ELi2ENSB_IJLi1ELi16ELi1ELi16EEEELi4ELNS_13LoopSchedulerE1ELNS_15PipelineVersionE0EDF16_DF16_EELb0EEEvNT_8ArgumentE.kd
    .uniform_work_group_size: 1
    .uses_dynamic_stack: false
    .vgpr_count:     0
    .vgpr_spill_count: 0
    .wavefront_size: 64
  - .agpr_count:     0
    .args:
      - .actual_access:  read_only
        .address_space:  global
        .offset:         0
        .size:           8
        .value_kind:     global_buffer
      - .actual_access:  read_only
        .address_space:  global
        .offset:         8
        .size:           8
        .value_kind:     global_buffer
      - .actual_access:  write_only
        .address_space:  global
        .offset:         16
        .size:           8
        .value_kind:     global_buffer
      - .offset:         24
        .size:           4
        .value_kind:     by_value
      - .offset:         28
        .size:           4
        .value_kind:     by_value
      - .offset:         32
        .size:           4
        .value_kind:     by_value
      - .offset:         36
        .size:           1
        .value_kind:     by_value
      - .offset:         37
        .size:           1
        .value_kind:     by_value
      - .offset:         38
        .size:           1
        .value_kind:     by_value
      - .offset:         40
        .size:           4
        .value_kind:     hidden_block_count_x
      - .offset:         44
        .size:           4
        .value_kind:     hidden_block_count_y
      - .offset:         48
        .size:           4
        .value_kind:     hidden_block_count_z
      - .offset:         52
        .size:           2
        .value_kind:     hidden_group_size_x
      - .offset:         54
        .size:           2
        .value_kind:     hidden_group_size_y
      - .offset:         56
        .size:           2
        .value_kind:     hidden_group_size_z
      - .offset:         58
        .size:           2
        .value_kind:     hidden_remainder_x
      - .offset:         60
        .size:           2
        .value_kind:     hidden_remainder_y
      - .offset:         62
        .size:           2
        .value_kind:     hidden_remainder_z
      - .offset:         80
        .size:           8
        .value_kind:     hidden_global_offset_x
      - .offset:         88
        .size:           8
        .value_kind:     hidden_global_offset_y
      - .offset:         96
        .size:           8
        .value_kind:     hidden_global_offset_z
      - .offset:         104
        .size:           2
        .value_kind:     hidden_grid_dims
    .group_segment_fixed_size: 0
    .kernarg_segment_align: 8
    .kernarg_segment_size: 296
    .language:       OpenCL C
    .language_version:
      - 2
      - 0
    .max_flat_workgroup_size: 256
    .name:           _ZN2ck17naive_gemm_kernelINS_13tensor_layout4gemm8RowMajorES3_S3_DF16_DF16_DF16_fNS_16tensor_operation12element_wise11PassThroughES6_S6_DF16_DF16_EEvPKT2_PKT3_PT4_iiiT6_T7_T8_
    .private_segment_fixed_size: 0
    .sgpr_count:     16
    .sgpr_spill_count: 0
    .symbol:         _ZN2ck17naive_gemm_kernelINS_13tensor_layout4gemm8RowMajorES3_S3_DF16_DF16_DF16_fNS_16tensor_operation12element_wise11PassThroughES6_S6_DF16_DF16_EEvPKT2_PKT3_PT4_iiiT6_T7_T8_.kd
    .uniform_work_group_size: 1
    .uses_dynamic_stack: false
    .vgpr_count:     11
    .vgpr_spill_count: 0
    .wavefront_size: 64
amdhsa.target:   amdgcn-amd-amdhsa--gfx90a
amdhsa.version:
  - 1
  - 2
...

	.end_amdgpu_metadata
